;; amdgpu-corpus repo=ROCm/rocFFT kind=compiled arch=gfx950 opt=O3
	.text
	.amdgcn_target "amdgcn-amd-amdhsa--gfx950"
	.amdhsa_code_object_version 6
	.protected	fft_rtc_back_len1694_factors_11_2_11_7_wgs_154_tpt_154_halfLds_dp_ip_CI_unitstride_sbrr_R2C_dirReg ; -- Begin function fft_rtc_back_len1694_factors_11_2_11_7_wgs_154_tpt_154_halfLds_dp_ip_CI_unitstride_sbrr_R2C_dirReg
	.globl	fft_rtc_back_len1694_factors_11_2_11_7_wgs_154_tpt_154_halfLds_dp_ip_CI_unitstride_sbrr_R2C_dirReg
	.p2align	8
	.type	fft_rtc_back_len1694_factors_11_2_11_7_wgs_154_tpt_154_halfLds_dp_ip_CI_unitstride_sbrr_R2C_dirReg,@function
fft_rtc_back_len1694_factors_11_2_11_7_wgs_154_tpt_154_halfLds_dp_ip_CI_unitstride_sbrr_R2C_dirReg: ; @fft_rtc_back_len1694_factors_11_2_11_7_wgs_154_tpt_154_halfLds_dp_ip_CI_unitstride_sbrr_R2C_dirReg
; %bb.0:
	s_load_dwordx2 s[8:9], s[0:1], 0x50
	s_load_dwordx4 s[4:7], s[0:1], 0x0
	s_load_dwordx2 s[10:11], s[0:1], 0x18
	v_mul_u32_u24_e32 v1, 0x1aa, v0
	v_add_u32_sdwa v6, s2, v1 dst_sel:DWORD dst_unused:UNUSED_PAD src0_sel:DWORD src1_sel:WORD_1
	v_mov_b32_e32 v4, 0
	s_waitcnt lgkmcnt(0)
	v_cmp_lt_u64_e64 s[2:3], s[6:7], 2
	v_mov_b32_e32 v7, v4
	s_and_b64 vcc, exec, s[2:3]
	v_mov_b64_e32 v[2:3], 0
	s_cbranch_vccnz .LBB0_8
; %bb.1:
	s_load_dwordx2 s[2:3], s[0:1], 0x10
	s_add_u32 s12, s10, 8
	s_addc_u32 s13, s11, 0
	s_mov_b64 s[14:15], 1
	v_mov_b64_e32 v[2:3], 0
	s_waitcnt lgkmcnt(0)
	s_add_u32 s16, s2, 8
	s_addc_u32 s17, s3, 0
.LBB0_2:                                ; =>This Inner Loop Header: Depth=1
	s_load_dwordx2 s[18:19], s[16:17], 0x0
                                        ; implicit-def: $vgpr8_vgpr9
	s_waitcnt lgkmcnt(0)
	v_or_b32_e32 v5, s19, v7
	v_cmp_ne_u64_e32 vcc, 0, v[4:5]
	s_and_saveexec_b64 s[2:3], vcc
	s_xor_b64 s[20:21], exec, s[2:3]
	s_cbranch_execz .LBB0_4
; %bb.3:                                ;   in Loop: Header=BB0_2 Depth=1
	v_cvt_f32_u32_e32 v1, s18
	v_cvt_f32_u32_e32 v5, s19
	s_sub_u32 s2, 0, s18
	s_subb_u32 s3, 0, s19
	v_fmac_f32_e32 v1, 0x4f800000, v5
	v_rcp_f32_e32 v1, v1
	s_nop 0
	v_mul_f32_e32 v1, 0x5f7ffffc, v1
	v_mul_f32_e32 v5, 0x2f800000, v1
	v_trunc_f32_e32 v5, v5
	v_fmac_f32_e32 v1, 0xcf800000, v5
	v_cvt_u32_f32_e32 v5, v5
	v_cvt_u32_f32_e32 v1, v1
	v_mul_lo_u32 v8, s2, v5
	v_mul_hi_u32 v10, s2, v1
	v_mul_lo_u32 v9, s3, v1
	v_add_u32_e32 v10, v10, v8
	v_mul_lo_u32 v12, s2, v1
	v_add_u32_e32 v13, v10, v9
	v_mul_hi_u32 v8, v1, v12
	v_mul_hi_u32 v11, v1, v13
	v_mul_lo_u32 v10, v1, v13
	v_mov_b32_e32 v9, v4
	v_lshl_add_u64 v[8:9], v[8:9], 0, v[10:11]
	v_mul_hi_u32 v11, v5, v12
	v_mul_lo_u32 v12, v5, v12
	v_add_co_u32_e32 v8, vcc, v8, v12
	v_mul_hi_u32 v10, v5, v13
	s_nop 0
	v_addc_co_u32_e32 v8, vcc, v9, v11, vcc
	v_mov_b32_e32 v9, v4
	s_nop 0
	v_addc_co_u32_e32 v11, vcc, 0, v10, vcc
	v_mul_lo_u32 v10, v5, v13
	v_lshl_add_u64 v[8:9], v[8:9], 0, v[10:11]
	v_add_co_u32_e32 v1, vcc, v1, v8
	v_mul_lo_u32 v10, s2, v1
	s_nop 0
	v_addc_co_u32_e32 v5, vcc, v5, v9, vcc
	v_mul_lo_u32 v8, s2, v5
	v_mul_hi_u32 v9, s2, v1
	v_add_u32_e32 v8, v9, v8
	v_mul_lo_u32 v9, s3, v1
	v_add_u32_e32 v12, v8, v9
	v_mul_hi_u32 v14, v5, v10
	v_mul_lo_u32 v15, v5, v10
	v_mul_hi_u32 v9, v1, v12
	v_mul_lo_u32 v8, v1, v12
	v_mul_hi_u32 v10, v1, v10
	v_mov_b32_e32 v11, v4
	v_lshl_add_u64 v[8:9], v[10:11], 0, v[8:9]
	v_add_co_u32_e32 v8, vcc, v8, v15
	v_mul_hi_u32 v13, v5, v12
	s_nop 0
	v_addc_co_u32_e32 v8, vcc, v9, v14, vcc
	v_mul_lo_u32 v10, v5, v12
	s_nop 0
	v_addc_co_u32_e32 v11, vcc, 0, v13, vcc
	v_mov_b32_e32 v9, v4
	v_lshl_add_u64 v[8:9], v[8:9], 0, v[10:11]
	v_add_co_u32_e32 v1, vcc, v1, v8
	v_mul_hi_u32 v10, v6, v1
	s_nop 0
	v_addc_co_u32_e32 v5, vcc, v5, v9, vcc
	v_mad_u64_u32 v[8:9], s[2:3], v6, v5, 0
	v_mov_b32_e32 v11, v4
	v_lshl_add_u64 v[8:9], v[10:11], 0, v[8:9]
	v_mad_u64_u32 v[12:13], s[2:3], v7, v1, 0
	v_add_co_u32_e32 v1, vcc, v8, v12
	v_mad_u64_u32 v[10:11], s[2:3], v7, v5, 0
	s_nop 0
	v_addc_co_u32_e32 v8, vcc, v9, v13, vcc
	v_mov_b32_e32 v9, v4
	s_nop 0
	v_addc_co_u32_e32 v11, vcc, 0, v11, vcc
	v_lshl_add_u64 v[8:9], v[8:9], 0, v[10:11]
	v_mul_lo_u32 v1, s19, v8
	v_mul_lo_u32 v5, s18, v9
	v_mad_u64_u32 v[10:11], s[2:3], s18, v8, 0
	v_add3_u32 v1, v11, v5, v1
	v_sub_u32_e32 v5, v7, v1
	v_mov_b32_e32 v11, s19
	v_sub_co_u32_e32 v14, vcc, v6, v10
	v_lshl_add_u64 v[12:13], v[8:9], 0, 1
	s_nop 0
	v_subb_co_u32_e64 v5, s[2:3], v5, v11, vcc
	v_subrev_co_u32_e64 v10, s[2:3], s18, v14
	v_subb_co_u32_e32 v1, vcc, v7, v1, vcc
	s_nop 0
	v_subbrev_co_u32_e64 v5, s[2:3], 0, v5, s[2:3]
	v_cmp_le_u32_e64 s[2:3], s19, v5
	v_cmp_le_u32_e32 vcc, s19, v1
	s_nop 0
	v_cndmask_b32_e64 v11, 0, -1, s[2:3]
	v_cmp_le_u32_e64 s[2:3], s18, v10
	s_nop 1
	v_cndmask_b32_e64 v10, 0, -1, s[2:3]
	v_cmp_eq_u32_e64 s[2:3], s19, v5
	s_nop 1
	v_cndmask_b32_e64 v5, v11, v10, s[2:3]
	v_lshl_add_u64 v[10:11], v[8:9], 0, 2
	v_cmp_ne_u32_e64 s[2:3], 0, v5
	s_nop 1
	v_cndmask_b32_e64 v5, v13, v11, s[2:3]
	v_cndmask_b32_e64 v11, 0, -1, vcc
	v_cmp_le_u32_e32 vcc, s18, v14
	s_nop 1
	v_cndmask_b32_e64 v13, 0, -1, vcc
	v_cmp_eq_u32_e32 vcc, s19, v1
	s_nop 1
	v_cndmask_b32_e32 v1, v11, v13, vcc
	v_cmp_ne_u32_e32 vcc, 0, v1
	v_cndmask_b32_e64 v1, v12, v10, s[2:3]
	s_nop 0
	v_cndmask_b32_e32 v9, v9, v5, vcc
	v_cndmask_b32_e32 v8, v8, v1, vcc
.LBB0_4:                                ;   in Loop: Header=BB0_2 Depth=1
	s_andn2_saveexec_b64 s[2:3], s[20:21]
	s_cbranch_execz .LBB0_6
; %bb.5:                                ;   in Loop: Header=BB0_2 Depth=1
	v_cvt_f32_u32_e32 v1, s18
	s_sub_i32 s20, 0, s18
	v_rcp_iflag_f32_e32 v1, v1
	s_nop 0
	v_mul_f32_e32 v1, 0x4f7ffffe, v1
	v_cvt_u32_f32_e32 v1, v1
	v_mul_lo_u32 v5, s20, v1
	v_mul_hi_u32 v5, v1, v5
	v_add_u32_e32 v1, v1, v5
	v_mul_hi_u32 v1, v6, v1
	v_mul_lo_u32 v5, v1, s18
	v_sub_u32_e32 v5, v6, v5
	v_add_u32_e32 v8, 1, v1
	v_subrev_u32_e32 v9, s18, v5
	v_cmp_le_u32_e32 vcc, s18, v5
	s_nop 1
	v_cndmask_b32_e32 v5, v5, v9, vcc
	v_cndmask_b32_e32 v1, v1, v8, vcc
	v_add_u32_e32 v8, 1, v1
	v_cmp_le_u32_e32 vcc, s18, v5
	v_mov_b32_e32 v9, v4
	s_nop 0
	v_cndmask_b32_e32 v8, v1, v8, vcc
.LBB0_6:                                ;   in Loop: Header=BB0_2 Depth=1
	s_or_b64 exec, exec, s[2:3]
	v_mad_u64_u32 v[10:11], s[2:3], v8, s18, 0
	s_load_dwordx2 s[2:3], s[12:13], 0x0
	v_mul_lo_u32 v1, v9, s18
	v_mul_lo_u32 v5, v8, s19
	v_add3_u32 v1, v11, v5, v1
	v_sub_co_u32_e32 v5, vcc, v6, v10
	s_add_u32 s14, s14, 1
	s_nop 0
	v_subb_co_u32_e32 v1, vcc, v7, v1, vcc
	s_addc_u32 s15, s15, 0
	s_waitcnt lgkmcnt(0)
	v_mul_lo_u32 v1, s2, v1
	v_mul_lo_u32 v6, s3, v5
	v_mad_u64_u32 v[2:3], s[2:3], s2, v5, v[2:3]
	s_add_u32 s12, s12, 8
	v_add3_u32 v3, v6, v3, v1
	s_addc_u32 s13, s13, 0
	v_mov_b64_e32 v[6:7], s[6:7]
	s_add_u32 s16, s16, 8
	v_cmp_ge_u64_e32 vcc, s[14:15], v[6:7]
	s_addc_u32 s17, s17, 0
	s_cbranch_vccnz .LBB0_9
; %bb.7:                                ;   in Loop: Header=BB0_2 Depth=1
	v_mov_b64_e32 v[6:7], v[8:9]
	s_branch .LBB0_2
.LBB0_8:
	v_mov_b64_e32 v[8:9], v[6:7]
.LBB0_9:
	s_lshl_b64 s[2:3], s[6:7], 3
	s_add_u32 s2, s10, s2
	s_addc_u32 s3, s11, s3
	s_load_dwordx2 s[6:7], s[2:3], 0x0
	s_load_dwordx2 s[10:11], s[0:1], 0x20
	s_mov_b32 s2, 0x1a98ef7
                                        ; implicit-def: $vgpr66_vgpr67
                                        ; implicit-def: $vgpr62
                                        ; implicit-def: $vgpr64
                                        ; implicit-def: $vgpr60
                                        ; implicit-def: $vgpr68
	s_waitcnt lgkmcnt(0)
	v_mul_lo_u32 v1, s6, v9
	v_mul_lo_u32 v4, s7, v8
	v_mad_u64_u32 v[2:3], s[0:1], s6, v8, v[2:3]
	v_add3_u32 v3, v4, v3, v1
	v_mul_hi_u32 v1, v0, s2
	v_mul_u32_u24_e32 v1, 0x9a, v1
	v_cmp_gt_u64_e64 s[0:1], s[10:11], v[8:9]
	v_cmp_le_u64_e32 vcc, s[10:11], v[8:9]
	v_sub_u32_e32 v56, v0, v1
	s_and_saveexec_b64 s[2:3], vcc
	s_xor_b64 s[2:3], exec, s[2:3]
; %bb.10:
	v_add_u32_e32 v67, 0x1ce, v56
	v_add_u32_e32 v62, 0x9a, v56
	;; [unrolled: 1-line block ×5, first 2 shown]
	v_mov_b32_e32 v68, v67
; %bb.11:
	s_or_saveexec_b64 s[2:3], s[2:3]
	v_lshl_add_u64 v[58:59], v[2:3], 4, s[8:9]
	v_lshl_add_u32 v70, v56, 4, 0
	s_xor_b64 exec, exec, s[2:3]
	s_cbranch_execz .LBB0_13
; %bb.12:
	v_mov_b32_e32 v57, 0
	v_lshl_add_u64 v[40:41], v[56:57], 4, v[58:59]
	s_movk_i32 s6, 0x2000
	v_add_co_u32_e32 v24, vcc, s6, v40
	s_movk_i32 s6, 0x3000
	s_nop 0
	v_addc_co_u32_e32 v25, vcc, 0, v41, vcc
	v_add_co_u32_e32 v32, vcc, s6, v40
	v_add_u32_e32 v66, 0x134, v56
	s_nop 0
	v_addc_co_u32_e32 v33, vcc, 0, v41, vcc
	s_movk_i32 s6, 0x4000
	v_add_u32_e32 v67, 0x1ce, v56
	v_mov_b32_e32 v8, v66
	v_mov_b32_e32 v9, v57
	v_add_co_u32_e32 v42, vcc, s6, v40
	v_lshl_add_u64 v[16:17], v[8:9], 4, v[58:59]
	v_mov_b32_e32 v8, v67
	v_addc_co_u32_e32 v43, vcc, 0, v41, vcc
	v_lshl_add_u64 v[18:19], v[8:9], 4, v[58:59]
	v_add_co_u32_e32 v44, vcc, 0x5000, v40
	global_load_dwordx4 v[0:3], v[40:41], off
	global_load_dwordx4 v[4:7], v[40:41], off offset:2464
	global_load_dwordx4 v[8:11], v[16:17], off
	global_load_dwordx4 v[12:15], v[18:19], off
	s_nop 0
	global_load_dwordx4 v[16:19], v[24:25], off offset:1664
	global_load_dwordx4 v[20:23], v[32:33], off offset:32
	s_nop 0
	global_load_dwordx4 v[24:27], v[32:33], off offset:2496
	global_load_dwordx4 v[28:31], v[42:43], off offset:864
	v_addc_co_u32_e32 v45, vcc, 0, v41, vcc
	global_load_dwordx4 v[32:35], v[42:43], off offset:3328
	global_load_dwordx4 v[36:39], v[44:45], off offset:1696
	v_add_co_u32_e32 v40, vcc, 0x6000, v40
	v_add_u32_e32 v62, 0x9a, v56
	s_nop 0
	v_addc_co_u32_e32 v41, vcc, 0, v41, vcc
	global_load_dwordx4 v[40:43], v[40:41], off offset:64
	v_add_u32_e32 v64, 0x268, v56
	v_add_u32_e32 v60, 0x302, v56
	v_mov_b32_e32 v68, v67
	v_lshl_add_u32 v44, v66, 4, 0
	v_lshl_add_u32 v45, v67, 4, 0
	s_waitcnt vmcnt(10)
	ds_write_b128 v70, v[0:3]
	s_waitcnt vmcnt(9)
	ds_write_b128 v70, v[4:7] offset:2464
	s_waitcnt vmcnt(8)
	ds_write_b128 v44, v[8:11]
	s_waitcnt vmcnt(7)
	ds_write_b128 v45, v[12:15]
	s_waitcnt vmcnt(6)
	ds_write_b128 v70, v[16:19] offset:9856
	s_waitcnt vmcnt(5)
	ds_write_b128 v70, v[20:23] offset:12320
	s_waitcnt vmcnt(4)
	ds_write_b128 v70, v[24:27] offset:14784
	s_waitcnt vmcnt(3)
	ds_write_b128 v70, v[28:31] offset:17248
	s_waitcnt vmcnt(2)
	ds_write_b128 v70, v[32:35] offset:19712
	s_waitcnt vmcnt(1)
	ds_write_b128 v70, v[36:39] offset:22176
	s_waitcnt vmcnt(0)
	ds_write_b128 v70, v[40:43] offset:24640
.LBB0_13:
	s_or_b64 exec, exec, s[2:3]
	s_waitcnt lgkmcnt(0)
	s_barrier
	ds_read_b128 v[4:7], v70
	ds_read_b128 v[28:31], v70 offset:2464
	ds_read_b128 v[34:37], v70 offset:4928
	;; [unrolled: 1-line block ×9, first 2 shown]
	s_waitcnt lgkmcnt(8)
	v_add_f64 v[0:1], v[4:5], v[28:29]
	v_add_f64 v[2:3], v[6:7], v[30:31]
	s_waitcnt lgkmcnt(7)
	v_add_f64 v[0:1], v[0:1], v[34:35]
	v_add_f64 v[2:3], v[2:3], v[36:37]
	;; [unrolled: 3-line block ×3, first 2 shown]
	s_waitcnt lgkmcnt(5)
	v_add_f64 v[0:1], v[0:1], v[16:17]
	ds_read_b128 v[72:75], v70 offset:24640
	v_add_f64 v[2:3], v[2:3], v[18:19]
	s_waitcnt lgkmcnt(5)
	v_add_f64 v[0:1], v[0:1], v[8:9]
	v_add_f64 v[2:3], v[2:3], v[10:11]
	s_waitcnt lgkmcnt(4)
	v_add_f64 v[0:1], v[0:1], v[12:13]
	;; [unrolled: 3-line block ×4, first 2 shown]
	s_mov_b32 s22, 0xf8bb580b
	s_mov_b32 s16, 0x8eee2c13
	;; [unrolled: 1-line block ×5, first 2 shown]
	v_add_f64 v[2:3], v[2:3], v[54:55]
	s_waitcnt lgkmcnt(1)
	v_add_f64 v[0:1], v[0:1], v[38:39]
	s_waitcnt lgkmcnt(0)
	v_add_f64 v[50:51], v[30:31], -v[74:75]
	s_mov_b32 s23, 0xbfe14ced
	s_mov_b32 s10, 0x8764f0ba
	;; [unrolled: 1-line block ×10, first 2 shown]
	v_add_f64 v[2:3], v[2:3], v[40:41]
	v_add_f64 v[0:1], v[0:1], v[72:73]
	;; [unrolled: 1-line block ×4, first 2 shown]
	v_add_f64 v[42:43], v[28:29], -v[72:73]
	v_add_f64 v[28:29], v[34:35], v[38:39]
	v_add_f64 v[32:33], v[36:37], v[40:41]
	v_add_f64 v[30:31], v[34:35], -v[38:39]
	v_add_f64 v[34:35], v[36:37], -v[40:41]
	v_add_f64 v[36:37], v[24:25], v[52:53]
	v_add_f64 v[24:25], v[24:25], -v[52:53]
	v_add_f64 v[40:41], v[16:17], v[20:21]
	v_add_f64 v[16:17], v[16:17], -v[20:21]
	v_add_f64 v[20:21], v[8:9], v[12:13]
	v_add_f64 v[8:9], v[8:9], -v[12:13]
	s_mov_b32 s11, 0x3feaeb8c
	v_mul_f64 v[12:13], v[50:51], s[22:23]
	s_mov_b32 s9, 0x3fda9628
	v_mul_f64 v[52:53], v[50:51], s[16:17]
	;; [unrolled: 2-line block ×4, first 2 shown]
	v_mul_f64 v[50:51], v[50:51], s[28:29]
	s_mov_b32 s31, 0xbfeeb42a
	v_add_f64 v[2:3], v[2:3], v[74:75]
	v_add_f64 v[38:39], v[26:27], v[54:55]
	v_add_f64 v[26:27], v[26:27], -v[54:55]
	v_add_f64 v[46:47], v[18:19], v[22:23]
	v_add_f64 v[18:19], v[18:19], -v[22:23]
	;; [unrolled: 2-line block ×3, first 2 shown]
	v_fma_f64 v[14:15], s[10:11], v[48:49], v[12:13]
	v_fma_f64 v[12:13], v[48:49], s[10:11], -v[12:13]
	v_fma_f64 v[54:55], s[8:9], v[48:49], v[52:53]
	v_fma_f64 v[52:53], v[48:49], s[8:9], -v[52:53]
	;; [unrolled: 2-line block ×5, first 2 shown]
	v_mul_f64 v[50:51], v[44:45], s[10:11]
	v_mul_f64 v[84:85], v[44:45], s[8:9]
	;; [unrolled: 1-line block ×5, first 2 shown]
	s_mov_b32 s35, 0x3fd207e7
	s_mov_b32 s34, s28
	;; [unrolled: 1-line block ×4, first 2 shown]
	v_fma_f64 v[96:97], s[34:35], v[42:43], v[44:45]
	v_fmac_f64_e32 v[44:45], s[28:29], v[42:43]
	v_fma_f64 v[82:83], s[20:21], v[42:43], v[50:51]
	s_mov_b32 s19, 0x3fed1bb4
	s_mov_b32 s18, s16
	;; [unrolled: 1-line block ×6, first 2 shown]
	v_add_f64 v[104:105], v[6:7], v[44:45]
	v_mul_f64 v[44:45], v[32:33], s[8:9]
	v_fmac_f64_e32 v[50:51], s[22:23], v[42:43]
	v_fma_f64 v[86:87], s[18:19], v[42:43], v[84:85]
	v_fmac_f64_e32 v[84:85], s[16:17], v[42:43]
	v_fma_f64 v[90:91], s[24:25], v[42:43], v[88:89]
	v_fmac_f64_e32 v[88:89], s[2:3], v[42:43]
	v_fma_f64 v[94:95], s[26:27], v[42:43], v[92:93]
	v_fmac_f64_e32 v[92:93], s[12:13], v[42:43]
	v_add_f64 v[14:15], v[4:5], v[14:15]
	v_add_f64 v[42:43], v[6:7], v[82:83]
	;; [unrolled: 1-line block ×11, first 2 shown]
	v_mul_f64 v[4:5], v[34:35], s[16:17]
	v_fma_f64 v[12:13], s[18:19], v[30:31], v[44:45]
	v_add_f64 v[50:51], v[6:7], v[50:51]
	v_add_f64 v[86:87], v[6:7], v[86:87]
	;; [unrolled: 1-line block ×8, first 2 shown]
	v_fma_f64 v[6:7], s[8:9], v[28:29], v[4:5]
	v_add_f64 v[12:13], v[12:13], v[42:43]
	v_mul_f64 v[42:43], v[26:27], s[2:3]
	v_add_f64 v[6:7], v[6:7], v[14:15]
	v_fma_f64 v[14:15], s[6:7], v[36:37], v[42:43]
	v_mul_f64 v[48:49], v[38:39], s[6:7]
	v_add_f64 v[6:7], v[14:15], v[6:7]
	v_fma_f64 v[14:15], s[24:25], v[24:25], v[48:49]
	;; [unrolled: 3-line block ×4, first 2 shown]
	v_mul_f64 v[106:107], v[10:11], s[28:29]
	v_fma_f64 v[4:5], v[28:29], s[8:9], -v[4:5]
	v_fmac_f64_e32 v[44:45], s[16:17], v[30:31]
	v_add_f64 v[14:15], v[14:15], v[12:13]
	v_fma_f64 v[12:13], s[30:31], v[20:21], v[106:107]
	v_add_f64 v[4:5], v[4:5], v[82:83]
	v_add_f64 v[44:45], v[44:45], v[50:51]
	v_fma_f64 v[42:43], v[36:37], s[6:7], -v[42:43]
	v_fmac_f64_e32 v[48:49], s[2:3], v[24:25]
	v_add_f64 v[12:13], v[12:13], v[6:7]
	v_mul_f64 v[6:7], v[22:23], s[30:31]
	v_add_f64 v[4:5], v[42:43], v[4:5]
	v_add_f64 v[42:43], v[48:49], v[44:45]
	v_fmac_f64_e32 v[80:81], s[12:13], v[16:17]
	v_fma_f64 v[108:109], s[34:35], v[8:9], v[6:7]
	v_add_f64 v[42:43], v[80:81], v[42:43]
	v_fmac_f64_e32 v[6:7], s[28:29], v[8:9]
	v_mul_f64 v[48:49], v[34:35], s[12:13]
	v_add_f64 v[6:7], v[6:7], v[42:43]
	v_fma_f64 v[42:43], s[14:15], v[28:29], v[48:49]
	v_fma_f64 v[44:45], v[40:41], s[14:15], -v[76:77]
	v_add_f64 v[42:43], v[42:43], v[54:55]
	v_mul_f64 v[54:55], v[26:27], s[34:35]
	v_add_f64 v[4:5], v[44:45], v[4:5]
	v_fma_f64 v[44:45], v[20:21], s[30:31], -v[106:107]
	v_mul_f64 v[50:51], v[32:33], s[14:15]
	v_fma_f64 v[76:77], s[30:31], v[36:37], v[54:55]
	v_add_f64 v[4:5], v[44:45], v[4:5]
	v_fma_f64 v[44:45], s[26:27], v[30:31], v[50:51]
	v_add_f64 v[42:43], v[76:77], v[42:43]
	v_mul_f64 v[76:77], v[38:39], s[30:31]
	v_add_f64 v[44:45], v[44:45], v[86:87]
	v_fma_f64 v[80:81], s[28:29], v[24:25], v[76:77]
	v_add_f64 v[44:45], v[80:81], v[44:45]
	v_mul_f64 v[80:81], v[18:19], s[24:25]
	v_fma_f64 v[82:83], s[6:7], v[40:41], v[80:81]
	v_add_f64 v[42:43], v[82:83], v[42:43]
	v_mul_f64 v[82:83], v[46:47], s[6:7]
	v_fma_f64 v[48:49], v[28:29], s[14:15], -v[48:49]
	v_fma_f64 v[86:87], s[2:3], v[16:17], v[82:83]
	v_add_f64 v[48:49], v[48:49], v[52:53]
	v_fmac_f64_e32 v[50:51], s[12:13], v[30:31]
	v_fma_f64 v[52:53], v[36:37], s[30:31], -v[54:55]
	v_add_f64 v[44:45], v[86:87], v[44:45]
	v_mul_f64 v[86:87], v[10:11], s[20:21]
	v_add_f64 v[50:51], v[50:51], v[84:85]
	v_add_f64 v[48:49], v[52:53], v[48:49]
	v_fmac_f64_e32 v[76:77], s[34:35], v[24:25]
	v_fma_f64 v[52:53], v[40:41], s[6:7], -v[80:81]
	v_add_f64 v[50:51], v[76:77], v[50:51]
	v_add_f64 v[48:49], v[52:53], v[48:49]
	v_fma_f64 v[52:53], v[20:21], s[10:11], -v[86:87]
	v_mul_f64 v[76:77], v[34:35], s[34:35]
	v_fmac_f64_e32 v[82:83], s[24:25], v[16:17]
	v_add_f64 v[48:49], v[52:53], v[48:49]
	v_fma_f64 v[52:53], s[30:31], v[28:29], v[76:77]
	v_mul_f64 v[80:81], v[26:27], s[18:19]
	v_add_f64 v[50:51], v[82:83], v[50:51]
	v_add_f64 v[52:53], v[52:53], v[74:75]
	v_mul_f64 v[74:75], v[32:33], s[30:31]
	v_fma_f64 v[82:83], s[8:9], v[36:37], v[80:81]
	v_fma_f64 v[54:55], s[28:29], v[30:31], v[74:75]
	v_add_f64 v[52:53], v[82:83], v[52:53]
	v_mul_f64 v[82:83], v[38:39], s[8:9]
	v_add_f64 v[54:55], v[54:55], v[90:91]
	v_fma_f64 v[84:85], s[16:17], v[24:25], v[82:83]
	v_add_f64 v[54:55], v[84:85], v[54:55]
	v_mul_f64 v[84:85], v[18:19], s[22:23]
	v_fma_f64 v[106:107], s[10:11], v[20:21], v[86:87]
	v_fma_f64 v[86:87], s[10:11], v[40:41], v[84:85]
	v_add_f64 v[52:53], v[86:87], v[52:53]
	v_mul_f64 v[86:87], v[46:47], s[10:11]
	v_fma_f64 v[76:77], v[28:29], s[30:31], -v[76:77]
	v_fma_f64 v[90:91], s[20:21], v[16:17], v[86:87]
	v_add_f64 v[72:73], v[76:77], v[72:73]
	v_fma_f64 v[76:77], v[36:37], s[8:9], -v[80:81]
	v_add_f64 v[54:55], v[90:91], v[54:55]
	v_mul_f64 v[90:91], v[10:11], s[12:13]
	v_fmac_f64_e32 v[74:75], s[34:35], v[30:31]
	v_add_f64 v[72:73], v[76:77], v[72:73]
	v_fma_f64 v[76:77], v[40:41], s[10:11], -v[84:85]
	v_add_f64 v[74:75], v[74:75], v[88:89]
	v_fmac_f64_e32 v[82:83], s[18:19], v[24:25]
	v_add_f64 v[72:73], v[76:77], v[72:73]
	v_fma_f64 v[76:77], v[20:21], s[14:15], -v[90:91]
	v_mul_f64 v[80:81], v[34:35], s[24:25]
	v_add_f64 v[74:75], v[82:83], v[74:75]
	v_fmac_f64_e32 v[86:87], s[22:23], v[16:17]
	v_add_f64 v[72:73], v[76:77], v[72:73]
	v_fma_f64 v[76:77], s[6:7], v[28:29], v[80:81]
	v_mul_f64 v[84:85], v[26:27], s[22:23]
	v_add_f64 v[74:75], v[86:87], v[74:75]
	v_add_f64 v[76:77], v[76:77], v[78:79]
	v_mul_f64 v[82:83], v[32:33], s[6:7]
	v_fma_f64 v[86:87], s[10:11], v[36:37], v[84:85]
	v_fma_f64 v[78:79], s[2:3], v[30:31], v[82:83]
	v_add_f64 v[76:77], v[86:87], v[76:77]
	v_mul_f64 v[86:87], v[38:39], s[10:11]
	v_add_f64 v[42:43], v[106:107], v[42:43]
	v_mul_f64 v[106:107], v[22:23], s[10:11]
	v_add_f64 v[78:79], v[78:79], v[94:95]
	v_fma_f64 v[88:89], s[20:21], v[24:25], v[86:87]
	v_add_f64 v[14:15], v[108:109], v[14:15]
	v_fma_f64 v[108:109], s[22:23], v[8:9], v[106:107]
	v_fmac_f64_e32 v[106:107], s[20:21], v[8:9]
	v_add_f64 v[78:79], v[88:89], v[78:79]
	v_mul_f64 v[88:89], v[18:19], s[28:29]
	v_add_f64 v[50:51], v[106:107], v[50:51]
	v_fma_f64 v[106:107], s[14:15], v[20:21], v[90:91]
	v_fma_f64 v[90:91], s[30:31], v[40:41], v[88:89]
	v_add_f64 v[76:77], v[90:91], v[76:77]
	v_mul_f64 v[90:91], v[46:47], s[30:31]
	v_fma_f64 v[80:81], v[28:29], s[6:7], -v[80:81]
	v_fma_f64 v[94:95], s[34:35], v[16:17], v[90:91]
	v_add_f64 v[80:81], v[80:81], v[98:99]
	v_fma_f64 v[84:85], v[36:37], s[10:11], -v[84:85]
	v_add_f64 v[78:79], v[94:95], v[78:79]
	v_mul_f64 v[94:95], v[10:11], s[18:19]
	v_add_f64 v[80:81], v[84:85], v[80:81]
	v_fma_f64 v[84:85], v[40:41], s[30:31], -v[88:89]
	v_fmac_f64_e32 v[82:83], s[24:25], v[30:31]
	v_add_f64 v[80:81], v[84:85], v[80:81]
	v_fma_f64 v[84:85], v[20:21], s[8:9], -v[94:95]
	v_add_f64 v[82:83], v[82:83], v[92:93]
	v_fmac_f64_e32 v[86:87], s[22:23], v[24:25]
	v_add_f64 v[80:81], v[84:85], v[80:81]
	v_mul_f64 v[84:85], v[34:35], s[20:21]
	v_add_f64 v[82:83], v[86:87], v[82:83]
	v_fma_f64 v[34:35], s[10:11], v[28:29], v[84:85]
	v_mul_f64 v[86:87], v[32:33], s[10:11]
	v_mul_f64 v[26:27], v[26:27], s[12:13]
	v_add_f64 v[34:35], v[34:35], v[100:101]
	v_fma_f64 v[32:33], s[22:23], v[30:31], v[86:87]
	v_fma_f64 v[88:89], s[14:15], v[36:37], v[26:27]
	v_mul_f64 v[38:39], v[38:39], s[14:15]
	v_add_f64 v[52:53], v[106:107], v[52:53]
	v_mul_f64 v[106:107], v[22:23], s[14:15]
	v_add_f64 v[32:33], v[32:33], v[96:97]
	v_add_f64 v[34:35], v[88:89], v[34:35]
	v_fma_f64 v[88:89], s[26:27], v[24:25], v[38:39]
	v_mul_f64 v[18:19], v[18:19], s[18:19]
	v_add_f64 v[44:45], v[108:109], v[44:45]
	v_fma_f64 v[108:109], s[26:27], v[8:9], v[106:107]
	v_fmac_f64_e32 v[106:107], s[12:13], v[8:9]
	v_add_f64 v[32:33], v[88:89], v[32:33]
	v_fma_f64 v[88:89], s[8:9], v[40:41], v[18:19]
	v_mul_f64 v[46:47], v[46:47], s[8:9]
	v_fma_f64 v[28:29], v[28:29], s[10:11], -v[84:85]
	v_fmac_f64_e32 v[86:87], s[20:21], v[30:31]
	v_add_f64 v[74:75], v[106:107], v[74:75]
	v_fma_f64 v[106:107], s[8:9], v[20:21], v[94:95]
	v_add_f64 v[34:35], v[88:89], v[34:35]
	v_fma_f64 v[88:89], s[16:17], v[16:17], v[46:47]
	v_mul_f64 v[10:11], v[10:11], s[2:3]
	v_add_f64 v[28:29], v[28:29], v[102:103]
	v_add_f64 v[30:31], v[86:87], v[104:105]
	v_fma_f64 v[26:27], v[36:37], s[14:15], -v[26:27]
	v_fmac_f64_e32 v[38:39], s[12:13], v[24:25]
	v_add_f64 v[76:77], v[106:107], v[76:77]
	v_mul_f64 v[106:107], v[22:23], s[8:9]
	v_add_f64 v[88:89], v[88:89], v[32:33]
	v_fma_f64 v[32:33], s[6:7], v[20:21], v[10:11]
	v_mul_f64 v[22:23], v[22:23], s[6:7]
	v_add_f64 v[26:27], v[26:27], v[28:29]
	v_add_f64 v[24:25], v[38:39], v[30:31]
	v_fma_f64 v[18:19], v[40:41], s[8:9], -v[18:19]
	v_fmac_f64_e32 v[46:47], s[18:19], v[16:17]
	v_fmac_f64_e32 v[90:91], s[28:29], v[16:17]
	v_add_f64 v[32:33], v[32:33], v[34:35]
	v_fma_f64 v[34:35], s[24:25], v[8:9], v[22:23]
	v_add_f64 v[18:19], v[18:19], v[26:27]
	v_add_f64 v[16:17], v[46:47], v[24:25]
	v_fma_f64 v[10:11], v[20:21], s[6:7], -v[10:11]
	v_fmac_f64_e32 v[22:23], s[2:3], v[8:9]
	s_movk_i32 s2, 0xa0
	v_add_f64 v[54:55], v[108:109], v[54:55]
	v_fma_f64 v[108:109], s[16:17], v[8:9], v[106:107]
	v_add_f64 v[82:83], v[90:91], v[82:83]
	v_fmac_f64_e32 v[106:107], s[18:19], v[8:9]
	v_add_f64 v[8:9], v[10:11], v[18:19]
	v_add_f64 v[10:11], v[22:23], v[16:17]
	v_mad_u32_u24 v16, v56, s2, v70
	v_add_f64 v[78:79], v[108:109], v[78:79]
	v_add_f64 v[82:83], v[106:107], v[82:83]
	;; [unrolled: 1-line block ×3, first 2 shown]
	s_barrier
	ds_write_b128 v16, v[0:3]
	ds_write_b128 v16, v[12:15] offset:16
	ds_write_b128 v16, v[42:45] offset:32
	;; [unrolled: 1-line block ×10, first 2 shown]
	v_lshl_add_u32 v74, v62, 4, 0
	v_lshl_add_u32 v72, v68, 4, 0
	s_waitcnt lgkmcnt(0)
	s_barrier
	ds_read_b128 v[8:11], v70
	ds_read_b128 v[16:19], v70 offset:13552
	v_lshl_add_u32 v73, v66, 4, 0
	ds_read_b128 v[12:15], v74
	ds_read_b128 v[24:27], v73
	ds_read_b128 v[20:23], v70 offset:16016
	ds_read_b128 v[0:3], v70 offset:18480
	v_lshl_add_u32 v61, v64, 4, 0
	ds_read_b128 v[32:35], v72
	ds_read_b128 v[28:31], v61
	ds_read_b128 v[40:43], v70 offset:20944
	ds_read_b128 v[36:39], v70 offset:23408
	s_movk_i32 s2, 0x4d
	v_cmp_gt_u32_e32 vcc, s2, v56
	v_lshl_add_u32 v71, v60, 4, 0
                                        ; implicit-def: $vgpr46_vgpr47
	s_and_saveexec_b64 s[2:3], vcc
	s_cbranch_execz .LBB0_15
; %bb.14:
	ds_read_b128 v[4:7], v71
	ds_read_b128 v[44:47], v70 offset:25872
.LBB0_15:
	s_or_b64 exec, exec, s[2:3]
	s_mov_b32 s2, 0xba2f
	v_mul_u32_u24_sdwa v48, v66, s2 dst_sel:DWORD dst_unused:UNUSED_PAD src0_sel:WORD_0 src1_sel:DWORD
	v_lshrrev_b32_e32 v51, 19, v48
	v_mul_lo_u16_e32 v48, 11, v51
	v_sub_u16_e32 v48, v66, v48
	v_lshlrev_b32_e32 v57, 4, v48
	v_mul_u32_u24_sdwa v48, v67, s2 dst_sel:DWORD dst_unused:UNUSED_PAD src0_sel:WORD_0 src1_sel:DWORD
	v_lshrrev_b32_e32 v63, 19, v48
	v_mul_lo_u16_e32 v48, 11, v63
	v_sub_u16_e32 v48, v67, v48
	v_lshlrev_b32_e32 v65, 4, v48
	;; [unrolled: 5-line block ×3, first 2 shown]
	v_mul_u32_u24_sdwa v48, v60, s2 dst_sel:DWORD dst_unused:UNUSED_PAD src0_sel:WORD_0 src1_sel:DWORD
	v_lshrrev_b32_e32 v49, 19, v48
	v_mul_lo_u16_e32 v48, 11, v49
	v_sub_u16_e32 v48, v60, v48
	s_movk_i32 s3, 0x75
	v_lshlrev_b32_e32 v50, 4, v48
	v_mul_lo_u16_sdwa v48, v56, s3 dst_sel:DWORD dst_unused:UNUSED_PAD src0_sel:BYTE_0 src1_sel:DWORD
	v_sub_u16_sdwa v75, v56, v48 dst_sel:DWORD dst_unused:UNUSED_PAD src0_sel:DWORD src1_sel:BYTE_1
	v_lshrrev_b16_e32 v75, 1, v75
	v_and_b32_e32 v75, 0x7f, v75
	v_add_u16_sdwa v48, v75, v48 dst_sel:DWORD dst_unused:UNUSED_PAD src0_sel:DWORD src1_sel:BYTE_1
	v_lshrrev_b16_e32 v75, 3, v48
	v_mul_lo_u16_e32 v48, 11, v75
	v_sub_u16_e32 v88, v56, v48
	v_mov_b32_e32 v48, 4
	v_lshlrev_b32_sdwa v104, v48, v88 dst_sel:DWORD dst_unused:UNUSED_PAD src0_sel:DWORD src1_sel:BYTE_0
	v_mul_u32_u24_sdwa v88, v62, s2 dst_sel:DWORD dst_unused:UNUSED_PAD src0_sel:WORD_0 src1_sel:DWORD
	global_load_dwordx4 v[52:55], v57, s[4:5]
	global_load_dwordx4 v[76:79], v65, s[4:5]
	;; [unrolled: 1-line block ×4, first 2 shown]
	v_lshrrev_b32_e32 v105, 19, v88
	v_mul_lo_u16_e32 v88, 11, v105
	v_sub_u16_e32 v92, v62, v88
	global_load_dwordx4 v[88:91], v104, s[4:5]
	v_lshlrev_b32_e32 v106, 4, v92
	global_load_dwordx4 v[92:95], v106, s[4:5]
	v_mul_u32_u24_e32 v75, 0x160, v75
	s_waitcnt lgkmcnt(0)
	s_barrier
	s_mov_b32 s3, 0x5040100
	s_movk_i32 s2, 0x160
	s_waitcnt vmcnt(5)
	v_mul_f64 v[96:97], v[2:3], v[54:55]
	v_mul_f64 v[54:55], v[0:1], v[54:55]
	s_waitcnt vmcnt(4)
	v_mul_f64 v[98:99], v[42:43], v[78:79]
	v_mul_f64 v[78:79], v[40:41], v[78:79]
	;; [unrolled: 3-line block ×4, first 2 shown]
	v_fmac_f64_e32 v[96:97], v[0:1], v[52:53]
	v_fma_f64 v[0:1], v[2:3], v[52:53], -v[54:55]
	v_fma_f64 v[2:3], v[42:43], v[76:77], -v[78:79]
	;; [unrolled: 1-line block ×4, first 2 shown]
	v_add_f64 v[42:43], v[34:35], -v[2:3]
	v_add_f64 v[46:47], v[30:31], -v[52:53]
	;; [unrolled: 1-line block ×3, first 2 shown]
	s_waitcnt vmcnt(1)
	v_mul_f64 v[52:53], v[18:19], v[90:91]
	v_mul_f64 v[54:55], v[16:17], v[90:91]
	v_fmac_f64_e32 v[52:53], v[16:17], v[88:89]
	v_fma_f64 v[18:19], v[18:19], v[88:89], -v[54:55]
	v_fmac_f64_e32 v[98:99], v[40:41], v[76:77]
	s_waitcnt vmcnt(0)
	v_mul_f64 v[76:77], v[22:23], v[94:95]
	v_mul_f64 v[78:79], v[20:21], v[94:95]
	v_add_f64 v[16:17], v[8:9], -v[52:53]
	v_add_f64 v[18:19], v[10:11], -v[18:19]
	v_fmac_f64_e32 v[76:77], v[20:21], v[92:93]
	v_fma_f64 v[22:23], v[22:23], v[92:93], -v[78:79]
	v_fma_f64 v[8:9], v[8:9], 2.0, -v[16:17]
	v_fma_f64 v[10:11], v[10:11], 2.0, -v[18:19]
	v_add3_u32 v52, 0, v75, v104
	v_add_f64 v[20:21], v[12:13], -v[76:77]
	v_add_f64 v[22:23], v[14:15], -v[22:23]
	ds_write_b128 v52, v[8:11]
	ds_write_b128 v52, v[16:19] offset:176
	v_mul_u32_u24_e32 v8, 0x160, v105
	v_fma_f64 v[12:13], v[12:13], 2.0, -v[20:21]
	v_fma_f64 v[14:15], v[14:15], 2.0, -v[22:23]
	v_add3_u32 v8, 0, v8, v106
	ds_write_b128 v8, v[12:15]
	ds_write_b128 v8, v[20:23] offset:176
	v_perm_b32 v8, v63, v51, s3
	v_pk_mul_lo_u16 v8, v8, s2 op_sel_hi:[1,0]
	v_fmac_f64_e32 v[100:101], v[36:37], v[80:81]
	v_add_f64 v[36:37], v[24:25], -v[96:97]
	v_add_f64 v[38:39], v[26:27], -v[0:1]
	;; [unrolled: 1-line block ×3, first 2 shown]
	v_and_b32_e32 v9, 0xffe0, v8
	v_lshrrev_b32_e32 v8, 16, v8
	v_fma_f64 v[24:25], v[24:25], 2.0, -v[36:37]
	v_fma_f64 v[26:27], v[26:27], 2.0, -v[38:39]
	v_fma_f64 v[32:33], v[32:33], 2.0, -v[40:41]
	v_fma_f64 v[34:35], v[34:35], 2.0, -v[42:43]
	v_add3_u32 v9, 0, v9, v57
	v_add3_u32 v8, 0, v8, v65
	v_fmac_f64_e32 v[102:103], v[44:45], v[84:85]
	v_add_f64 v[44:45], v[28:29], -v[100:101]
	ds_write_b128 v9, v[24:27]
	ds_write_b128 v9, v[36:39] offset:176
	ds_write_b128 v8, v[32:35]
	ds_write_b128 v8, v[40:43] offset:176
	v_mul_u32_u24_e32 v8, 0x160, v67
	v_add_f64 v[0:1], v[4:5], -v[102:103]
	v_fma_f64 v[28:29], v[28:29], 2.0, -v[44:45]
	v_fma_f64 v[30:31], v[30:31], 2.0, -v[46:47]
	v_add3_u32 v8, 0, v8, v69
	ds_write_b128 v8, v[28:31]
	ds_write_b128 v8, v[44:47] offset:176
	s_and_saveexec_b64 s[2:3], vcc
	s_cbranch_execz .LBB0_17
; %bb.16:
	v_mul_lo_u16_e32 v8, 22, v49
	v_lshlrev_b32_e32 v8, 4, v8
	v_fma_f64 v[6:7], v[6:7], 2.0, -v[2:3]
	v_fma_f64 v[4:5], v[4:5], 2.0, -v[0:1]
	v_add3_u32 v8, 0, v50, v8
	ds_write_b128 v8, v[4:7]
	ds_write_b128 v8, v[0:3] offset:176
.LBB0_17:
	s_or_b64 exec, exec, s[2:3]
	v_lshrrev_b16_e32 v4, 1, v56
	v_and_b32_e32 v4, 0x7f, v4
	v_mul_lo_u16_e32 v4, 0xbb, v4
	v_lshrrev_b16_e32 v24, 11, v4
	v_mul_lo_u16_e32 v4, 22, v24
	v_sub_u16_e32 v25, v56, v4
	v_mov_b32_e32 v4, 10
	v_mul_u32_u24_sdwa v4, v25, v4 dst_sel:DWORD dst_unused:UNUSED_PAD src0_sel:BYTE_0 src1_sel:DWORD
	v_lshlrev_b32_e32 v4, 4, v4
	s_waitcnt lgkmcnt(0)
	s_barrier
	global_load_dwordx4 v[8:11], v4, s[4:5] offset:176
	global_load_dwordx4 v[16:19], v4, s[4:5] offset:192
	;; [unrolled: 1-line block ×10, first 2 shown]
	ds_read_b128 v[80:83], v74
	ds_read_b128 v[84:87], v73
	;; [unrolled: 1-line block ×6, first 2 shown]
	ds_read_b128 v[104:107], v70 offset:14784
	ds_read_b128 v[108:111], v70 offset:17248
	;; [unrolled: 1-line block ×5, first 2 shown]
	s_mov_b32 s2, 0xf8bb580b
	s_mov_b32 s8, 0x8eee2c13
	;; [unrolled: 1-line block ×24, first 2 shown]
	v_mul_u32_u24_e32 v24, 0xf20, v24
	v_lshlrev_b32_sdwa v25, v48, v25 dst_sel:DWORD dst_unused:UNUSED_PAD src0_sel:DWORD src1_sel:BYTE_0
	v_add3_u32 v24, 0, v24, v25
	s_waitcnt lgkmcnt(0)
	s_barrier
	s_waitcnt vmcnt(9)
	v_mul_f64 v[46:47], v[82:83], v[10:11]
	v_mul_f64 v[10:11], v[80:81], v[10:11]
	s_waitcnt vmcnt(8)
	v_mul_f64 v[54:55], v[86:87], v[18:19]
	v_mul_f64 v[18:19], v[84:85], v[18:19]
	;; [unrolled: 3-line block ×4, first 2 shown]
	v_fmac_f64_e32 v[46:47], v[80:81], v[8:9]
	v_fma_f64 v[80:81], v[82:83], v[8:9], -v[10:11]
	v_fmac_f64_e32 v[54:55], v[84:85], v[16:17]
	v_fma_f64 v[84:85], v[86:87], v[16:17], -v[18:19]
	;; [unrolled: 2-line block ×4, first 2 shown]
	v_add_f64 v[20:21], v[96:97], v[46:47]
	v_add_f64 v[30:31], v[98:99], v[80:81]
	v_mul_f64 v[12:13], v[94:95], v[28:29]
	v_mul_f64 v[28:29], v[92:93], v[28:29]
	v_add_f64 v[20:21], v[20:21], v[54:55]
	v_add_f64 v[30:31], v[30:31], v[84:85]
	v_fmac_f64_e32 v[12:13], v[92:93], v[26:27]
	v_fma_f64 v[16:17], v[94:95], v[26:27], -v[28:29]
	v_add_f64 v[20:21], v[20:21], v[124:125]
	v_add_f64 v[30:31], v[30:31], v[88:89]
	s_waitcnt vmcnt(4)
	v_mul_f64 v[6:7], v[106:107], v[36:37]
	v_mul_f64 v[36:37], v[104:105], v[36:37]
	v_add_f64 v[20:21], v[20:21], v[12:13]
	v_add_f64 v[30:31], v[30:31], v[16:17]
	s_waitcnt vmcnt(3)
	v_mul_f64 v[14:15], v[110:111], v[40:41]
	v_mul_f64 v[40:41], v[108:109], v[40:41]
	v_fmac_f64_e32 v[6:7], v[104:105], v[34:35]
	v_fma_f64 v[10:11], v[106:107], v[34:35], -v[36:37]
	v_add_f64 v[20:21], v[20:21], v[4:5]
	v_add_f64 v[30:31], v[30:31], v[8:9]
	s_waitcnt vmcnt(2)
	v_mul_f64 v[82:83], v[114:115], v[44:45]
	v_mul_f64 v[44:45], v[112:113], v[44:45]
	s_waitcnt vmcnt(0)
	v_mul_f64 v[86:87], v[122:123], v[78:79]
	v_mul_f64 v[78:79], v[120:121], v[78:79]
	v_fmac_f64_e32 v[14:15], v[108:109], v[38:39]
	v_fma_f64 v[18:19], v[110:111], v[38:39], -v[40:41]
	v_add_f64 v[20:21], v[20:21], v[6:7]
	v_add_f64 v[30:31], v[30:31], v[10:11]
	v_mul_f64 v[126:127], v[118:119], v[52:53]
	v_mul_f64 v[52:53], v[116:117], v[52:53]
	v_fmac_f64_e32 v[82:83], v[112:113], v[42:43]
	v_fma_f64 v[26:27], v[114:115], v[42:43], -v[44:45]
	v_fma_f64 v[22:23], v[122:123], v[76:77], -v[78:79]
	v_add_f64 v[20:21], v[20:21], v[14:15]
	v_add_f64 v[30:31], v[30:31], v[18:19]
	v_fmac_f64_e32 v[126:127], v[116:117], v[50:51]
	v_fma_f64 v[28:29], v[118:119], v[50:51], -v[52:53]
	v_fmac_f64_e32 v[86:87], v[120:121], v[76:77]
	v_add_f64 v[38:39], v[80:81], -v[22:23]
	v_add_f64 v[20:21], v[20:21], v[82:83]
	v_add_f64 v[30:31], v[30:31], v[26:27]
	;; [unrolled: 1-line block ×4, first 2 shown]
	v_add_f64 v[36:37], v[46:47], -v[86:87]
	v_mul_f64 v[40:41], v[38:39], s[2:3]
	v_add_f64 v[20:21], v[20:21], v[126:127]
	v_add_f64 v[30:31], v[30:31], v[28:29]
	v_mul_f64 v[46:47], v[38:39], s[8:9]
	v_mul_f64 v[78:79], v[38:39], s[6:7]
	v_mul_f64 v[92:93], v[38:39], s[22:23]
	v_mul_f64 v[38:39], v[38:39], s[28:29]
	v_add_f64 v[20:21], v[20:21], v[86:87]
	v_add_f64 v[22:23], v[30:31], v[22:23]
	v_fma_f64 v[30:31], s[16:17], v[32:33], v[40:41]
	v_mul_f64 v[42:43], v[34:35], s[16:17]
	v_fma_f64 v[40:41], v[32:33], s[16:17], -v[40:41]
	v_fma_f64 v[50:51], s[10:11], v[32:33], v[46:47]
	v_mul_f64 v[52:53], v[34:35], s[10:11]
	v_fma_f64 v[46:47], v[32:33], s[10:11], -v[46:47]
	;; [unrolled: 3-line block ×5, first 2 shown]
	v_add_f64 v[38:39], v[84:85], v[28:29]
	v_add_f64 v[28:29], v[84:85], -v[28:29]
	v_fma_f64 v[44:45], s[18:19], v[36:37], v[42:43]
	v_fmac_f64_e32 v[42:43], s[2:3], v[36:37]
	v_fma_f64 v[76:77], s[12:13], v[36:37], v[52:53]
	v_fmac_f64_e32 v[52:53], s[8:9], v[36:37]
	;; [unrolled: 2-line block ×5, first 2 shown]
	v_add_f64 v[36:37], v[54:55], v[126:127]
	v_mul_f64 v[84:85], v[28:29], s[8:9]
	v_add_f64 v[30:31], v[96:97], v[30:31]
	v_add_f64 v[40:41], v[96:97], v[40:41]
	;; [unrolled: 1-line block ×10, first 2 shown]
	v_fma_f64 v[96:97], s[10:11], v[36:37], v[84:85]
	v_add_f64 v[54:55], v[54:55], -v[126:127]
	v_add_f64 v[30:31], v[96:97], v[30:31]
	v_mul_f64 v[96:97], v[38:39], s[10:11]
	v_fma_f64 v[84:85], v[36:37], s[10:11], -v[84:85]
	v_add_f64 v[44:45], v[98:99], v[44:45]
	v_add_f64 v[42:43], v[98:99], v[42:43]
	;; [unrolled: 1-line block ×10, first 2 shown]
	v_fma_f64 v[98:99], s[12:13], v[54:55], v[96:97]
	v_add_f64 v[40:41], v[84:85], v[40:41]
	v_fmac_f64_e32 v[96:97], s[8:9], v[54:55]
	v_mul_f64 v[84:85], v[28:29], s[22:23]
	v_add_f64 v[42:43], v[96:97], v[42:43]
	v_fma_f64 v[96:97], s[24:25], v[36:37], v[84:85]
	v_add_f64 v[50:51], v[96:97], v[50:51]
	v_mul_f64 v[96:97], v[38:39], s[24:25]
	v_fma_f64 v[84:85], v[36:37], s[24:25], -v[84:85]
	v_add_f64 v[44:45], v[98:99], v[44:45]
	v_fma_f64 v[98:99], s[26:27], v[54:55], v[96:97]
	v_add_f64 v[46:47], v[84:85], v[46:47]
	v_fmac_f64_e32 v[96:97], s[22:23], v[54:55]
	v_mul_f64 v[84:85], v[28:29], s[34:35]
	v_add_f64 v[52:53], v[96:97], v[52:53]
	v_fma_f64 v[96:97], s[30:31], v[36:37], v[84:85]
	v_add_f64 v[80:81], v[96:97], v[80:81]
	v_mul_f64 v[96:97], v[38:39], s[30:31]
	v_add_f64 v[76:77], v[98:99], v[76:77]
	v_fma_f64 v[98:99], s[28:29], v[54:55], v[96:97]
	v_fma_f64 v[84:85], v[36:37], s[30:31], -v[84:85]
	v_fmac_f64_e32 v[96:97], s[34:35], v[54:55]
	v_add_f64 v[78:79], v[84:85], v[78:79]
	v_add_f64 v[84:85], v[96:97], v[86:87]
	v_mul_f64 v[86:87], v[28:29], s[20:21]
	v_fma_f64 v[96:97], s[14:15], v[36:37], v[86:87]
	v_add_f64 v[94:95], v[96:97], v[94:95]
	v_mul_f64 v[96:97], v[38:39], s[14:15]
	v_add_f64 v[90:91], v[98:99], v[90:91]
	v_fma_f64 v[98:99], s[6:7], v[54:55], v[96:97]
	v_fma_f64 v[86:87], v[36:37], s[14:15], -v[86:87]
	v_fmac_f64_e32 v[96:97], s[20:21], v[54:55]
	v_mul_f64 v[28:29], v[28:29], s[18:19]
	v_mul_f64 v[38:39], v[38:39], s[16:17]
	v_add_f64 v[86:87], v[86:87], v[92:93]
	v_add_f64 v[92:93], v[96:97], v[100:101]
	v_fma_f64 v[96:97], s[16:17], v[36:37], v[28:29]
	v_fma_f64 v[100:101], s[2:3], v[54:55], v[38:39]
	v_fma_f64 v[28:29], v[36:37], s[16:17], -v[28:29]
	v_fmac_f64_e32 v[38:39], s[18:19], v[54:55]
	v_add_f64 v[36:37], v[88:89], v[26:27]
	v_add_f64 v[26:27], v[88:89], -v[26:27]
	v_add_f64 v[28:29], v[28:29], v[32:33]
	v_add_f64 v[32:33], v[38:39], v[34:35]
	;; [unrolled: 1-line block ×3, first 2 shown]
	v_mul_f64 v[54:55], v[26:27], s[6:7]
	v_add_f64 v[38:39], v[124:125], -v[82:83]
	v_fma_f64 v[82:83], s[14:15], v[34:35], v[54:55]
	v_add_f64 v[30:31], v[82:83], v[30:31]
	v_mul_f64 v[82:83], v[36:37], s[14:15]
	v_fma_f64 v[54:55], v[34:35], s[14:15], -v[54:55]
	v_fma_f64 v[88:89], s[20:21], v[38:39], v[82:83]
	v_add_f64 v[40:41], v[54:55], v[40:41]
	v_fmac_f64_e32 v[82:83], s[6:7], v[38:39]
	v_mul_f64 v[54:55], v[26:27], s[34:35]
	v_add_f64 v[42:43], v[82:83], v[42:43]
	v_fma_f64 v[82:83], s[30:31], v[34:35], v[54:55]
	v_add_f64 v[50:51], v[82:83], v[50:51]
	v_mul_f64 v[82:83], v[36:37], s[30:31]
	v_fma_f64 v[54:55], v[34:35], s[30:31], -v[54:55]
	v_add_f64 v[44:45], v[88:89], v[44:45]
	v_fma_f64 v[88:89], s[28:29], v[38:39], v[82:83]
	v_add_f64 v[46:47], v[54:55], v[46:47]
	v_fmac_f64_e32 v[82:83], s[34:35], v[38:39]
	v_mul_f64 v[54:55], v[26:27], s[12:13]
	v_add_f64 v[52:53], v[82:83], v[52:53]
	v_fma_f64 v[82:83], s[10:11], v[34:35], v[54:55]
	v_add_f64 v[80:81], v[82:83], v[80:81]
	v_mul_f64 v[82:83], v[36:37], s[10:11]
	v_add_f64 v[76:77], v[88:89], v[76:77]
	v_fma_f64 v[88:89], s[8:9], v[38:39], v[82:83]
	v_fma_f64 v[54:55], v[34:35], s[10:11], -v[54:55]
	v_fmac_f64_e32 v[82:83], s[12:13], v[38:39]
	v_add_f64 v[54:55], v[54:55], v[78:79]
	v_add_f64 v[78:79], v[82:83], v[84:85]
	v_mul_f64 v[82:83], v[26:27], s[2:3]
	v_add_f64 v[88:89], v[88:89], v[90:91]
	v_fma_f64 v[84:85], s[16:17], v[34:35], v[82:83]
	v_mul_f64 v[90:91], v[36:37], s[16:17]
	v_add_f64 v[84:85], v[84:85], v[94:95]
	v_fma_f64 v[94:95], s[18:19], v[38:39], v[90:91]
	v_fma_f64 v[82:83], v[34:35], s[16:17], -v[82:83]
	v_fmac_f64_e32 v[90:91], s[2:3], v[38:39]
	v_mul_f64 v[26:27], v[26:27], s[22:23]
	v_mul_f64 v[36:37], v[36:37], s[24:25]
	v_add_f64 v[82:83], v[82:83], v[86:87]
	v_add_f64 v[86:87], v[90:91], v[92:93]
	v_fma_f64 v[90:91], s[24:25], v[34:35], v[26:27]
	v_fma_f64 v[92:93], s[26:27], v[38:39], v[36:37]
	v_fma_f64 v[26:27], v[34:35], s[24:25], -v[26:27]
	v_fmac_f64_e32 v[36:37], s[22:23], v[38:39]
	v_add_f64 v[26:27], v[26:27], v[28:29]
	v_add_f64 v[28:29], v[36:37], v[32:33]
	;; [unrolled: 1-line block ×3, first 2 shown]
	v_add_f64 v[12:13], v[12:13], -v[14:15]
	v_add_f64 v[14:15], v[16:17], -v[18:19]
	v_add_f64 v[34:35], v[16:17], v[18:19]
	v_mul_f64 v[16:17], v[14:15], s[22:23]
	v_fma_f64 v[18:19], s[24:25], v[32:33], v[16:17]
	v_add_f64 v[18:19], v[18:19], v[30:31]
	v_mul_f64 v[30:31], v[34:35], s[24:25]
	v_fma_f64 v[36:37], s[26:27], v[12:13], v[30:31]
	v_fma_f64 v[16:17], v[32:33], s[24:25], -v[16:17]
	v_fmac_f64_e32 v[30:31], s[22:23], v[12:13]
	v_mul_f64 v[38:39], v[14:15], s[20:21]
	v_add_f64 v[16:17], v[16:17], v[40:41]
	v_add_f64 v[30:31], v[30:31], v[42:43]
	v_fma_f64 v[40:41], s[14:15], v[32:33], v[38:39]
	v_mul_f64 v[42:43], v[34:35], s[14:15]
	v_fma_f64 v[38:39], v[32:33], s[14:15], -v[38:39]
	v_add_f64 v[36:37], v[36:37], v[44:45]
	v_fma_f64 v[44:45], s[6:7], v[12:13], v[42:43]
	v_add_f64 v[38:39], v[38:39], v[46:47]
	v_fmac_f64_e32 v[42:43], s[20:21], v[12:13]
	v_mul_f64 v[46:47], v[14:15], s[2:3]
	v_add_f64 v[40:41], v[40:41], v[50:51]
	v_add_f64 v[42:43], v[42:43], v[52:53]
	v_fma_f64 v[50:51], s[16:17], v[32:33], v[46:47]
	v_mul_f64 v[52:53], v[34:35], s[16:17]
	v_fma_f64 v[46:47], v[32:33], s[16:17], -v[46:47]
	v_add_f64 v[44:45], v[44:45], v[76:77]
	v_fma_f64 v[76:77], s[18:19], v[12:13], v[52:53]
	v_add_f64 v[46:47], v[46:47], v[54:55]
	v_fmac_f64_e32 v[52:53], s[2:3], v[12:13]
	v_mul_f64 v[54:55], v[14:15], s[28:29]
	v_add_f64 v[50:51], v[50:51], v[80:81]
	v_add_f64 v[52:53], v[52:53], v[78:79]
	v_fma_f64 v[78:79], s[30:31], v[32:33], v[54:55]
	v_mul_f64 v[80:81], v[34:35], s[30:31]
	v_add_f64 v[98:99], v[98:99], v[102:103]
	v_add_f64 v[100:101], v[100:101], v[106:107]
	;; [unrolled: 1-line block ×3, first 2 shown]
	v_fma_f64 v[84:85], s[34:35], v[12:13], v[80:81]
	v_fmac_f64_e32 v[80:81], s[28:29], v[12:13]
	v_mul_f64 v[34:35], v[34:35], s[10:11]
	v_add_f64 v[96:97], v[96:97], v[104:105]
	v_add_f64 v[94:95], v[94:95], v[98:99]
	;; [unrolled: 1-line block ×4, first 2 shown]
	v_fma_f64 v[86:87], s[8:9], v[12:13], v[34:35]
	v_add_f64 v[98:99], v[8:9], -v[10:11]
	v_add_f64 v[90:91], v[90:91], v[96:97]
	v_fma_f64 v[54:55], v[32:33], s[30:31], -v[54:55]
	v_mul_f64 v[14:15], v[14:15], s[12:13]
	v_add_f64 v[86:87], v[86:87], v[92:93]
	v_add_f64 v[92:93], v[4:5], v[6:7]
	v_add_f64 v[96:97], v[4:5], -v[6:7]
	v_mul_f64 v[4:5], v[98:99], s[28:29]
	v_add_f64 v[84:85], v[84:85], v[94:95]
	v_add_f64 v[54:55], v[54:55], v[82:83]
	v_fma_f64 v[82:83], s[10:11], v[32:33], v[14:15]
	v_fma_f64 v[14:15], v[32:33], s[10:11], -v[14:15]
	v_add_f64 v[94:95], v[8:9], v[10:11]
	v_fma_f64 v[6:7], s[30:31], v[92:93], v[4:5]
	v_add_f64 v[76:77], v[76:77], v[88:89]
	v_add_f64 v[88:89], v[14:15], v[26:27]
	v_add_f64 v[26:27], v[6:7], v[18:19]
	v_mul_f64 v[6:7], v[94:95], s[30:31]
	v_fmac_f64_e32 v[34:35], s[12:13], v[12:13]
	v_fma_f64 v[8:9], s[34:35], v[96:97], v[6:7]
	v_fma_f64 v[4:5], v[92:93], s[30:31], -v[4:5]
	v_add_f64 v[82:83], v[82:83], v[90:91]
	v_add_f64 v[90:91], v[34:35], v[28:29]
	;; [unrolled: 1-line block ×4, first 2 shown]
	v_fmac_f64_e32 v[6:7], s[28:29], v[96:97]
	v_mul_f64 v[4:5], v[98:99], s[18:19]
	v_add_f64 v[10:11], v[6:7], v[30:31]
	v_fma_f64 v[6:7], s[16:17], v[92:93], v[4:5]
	v_add_f64 v[30:31], v[6:7], v[40:41]
	v_mul_f64 v[6:7], v[94:95], s[16:17]
	v_fma_f64 v[12:13], s[2:3], v[96:97], v[6:7]
	v_fma_f64 v[4:5], v[92:93], s[16:17], -v[4:5]
	v_add_f64 v[32:33], v[12:13], v[44:45]
	v_add_f64 v[12:13], v[4:5], v[38:39]
	v_fmac_f64_e32 v[6:7], s[18:19], v[96:97]
	v_mul_f64 v[4:5], v[98:99], s[22:23]
	v_add_f64 v[14:15], v[6:7], v[42:43]
	v_fma_f64 v[6:7], s[24:25], v[92:93], v[4:5]
	v_add_f64 v[34:35], v[6:7], v[50:51]
	v_mul_f64 v[6:7], v[94:95], s[24:25]
	v_fma_f64 v[16:17], s[26:27], v[96:97], v[6:7]
	v_fma_f64 v[4:5], v[92:93], s[24:25], -v[4:5]
	v_add_f64 v[36:37], v[16:17], v[76:77]
	v_add_f64 v[16:17], v[4:5], v[46:47]
	v_fmac_f64_e32 v[6:7], s[22:23], v[96:97]
	v_mul_f64 v[4:5], v[98:99], s[12:13]
	v_add_f64 v[18:19], v[6:7], v[52:53]
	v_fma_f64 v[6:7], s[10:11], v[92:93], v[4:5]
	v_add_f64 v[38:39], v[6:7], v[78:79]
	v_mul_f64 v[6:7], v[94:95], s[10:11]
	v_mul_f64 v[46:47], v[98:99], s[6:7]
	;; [unrolled: 1-line block ×3, first 2 shown]
	v_fma_f64 v[40:41], s[8:9], v[96:97], v[6:7]
	v_fma_f64 v[42:43], s[14:15], v[92:93], v[46:47]
	;; [unrolled: 1-line block ×3, first 2 shown]
	v_fma_f64 v[46:47], v[92:93], s[14:15], -v[46:47]
	v_fmac_f64_e32 v[52:53], s[6:7], v[96:97]
	v_add_f64 v[40:41], v[40:41], v[84:85]
	v_fma_f64 v[4:5], v[92:93], s[10:11], -v[4:5]
	v_fmac_f64_e32 v[6:7], s[12:13], v[96:97]
	v_add_f64 v[42:43], v[42:43], v[82:83]
	v_add_f64 v[44:45], v[44:45], v[86:87]
	;; [unrolled: 1-line block ×6, first 2 shown]
	ds_write_b128 v24, v[20:23]
	ds_write_b128 v24, v[26:29] offset:352
	ds_write_b128 v24, v[30:33] offset:704
	;; [unrolled: 1-line block ×10, first 2 shown]
	s_waitcnt lgkmcnt(0)
	s_barrier
	ds_read_b128 v[28:31], v70
	ds_read_b128 v[52:55], v70 offset:3872
	ds_read_b128 v[48:51], v70 offset:7744
	;; [unrolled: 1-line block ×6, first 2 shown]
	s_movk_i32 s2, 0x58
	v_cmp_gt_u32_e64 s[2:3], s2, v56
                                        ; implicit-def: $vgpr26_vgpr27
                                        ; implicit-def: $vgpr22_vgpr23
	s_and_saveexec_b64 s[6:7], s[2:3]
	s_cbranch_execz .LBB0_19
; %bb.18:
	ds_read_b128 v[4:7], v74
	ds_read_b128 v[16:19], v70 offset:6336
	ds_read_b128 v[12:15], v70 offset:10208
	;; [unrolled: 1-line block ×6, first 2 shown]
.LBB0_19:
	s_or_b64 exec, exec, s[6:7]
	v_mul_u32_u24_e32 v57, 6, v56
	v_lshlrev_b32_e32 v57, 4, v57
	global_load_dwordx4 v[76:79], v57, s[4:5] offset:3696
	global_load_dwordx4 v[80:83], v57, s[4:5] offset:3712
	;; [unrolled: 1-line block ×6, first 2 shown]
	s_mov_b32 s10, 0x37e14327
	s_mov_b32 s12, 0x36b3c0b5
	;; [unrolled: 1-line block ×20, first 2 shown]
	s_waitcnt lgkmcnt(0)
	s_barrier
	s_waitcnt vmcnt(5)
	v_mul_f64 v[100:101], v[54:55], v[78:79]
	v_mul_f64 v[78:79], v[52:53], v[78:79]
	s_waitcnt vmcnt(4)
	v_mul_f64 v[102:103], v[50:51], v[82:83]
	v_mul_f64 v[82:83], v[48:49], v[82:83]
	;; [unrolled: 3-line block ×4, first 2 shown]
	v_mul_f64 v[104:105], v[46:47], v[86:87]
	v_mul_f64 v[86:87], v[44:45], v[86:87]
	;; [unrolled: 1-line block ×4, first 2 shown]
	v_fmac_f64_e32 v[100:101], v[52:53], v[76:77]
	v_fma_f64 v[52:53], v[54:55], v[76:77], -v[78:79]
	v_fmac_f64_e32 v[102:103], v[48:49], v[80:81]
	v_fma_f64 v[48:49], v[50:51], v[80:81], -v[82:83]
	;; [unrolled: 2-line block ×6, first 2 shown]
	v_add_f64 v[34:35], v[100:101], v[110:111]
	v_add_f64 v[38:39], v[52:53], v[32:33]
	;; [unrolled: 1-line block ×4, first 2 shown]
	v_add_f64 v[36:37], v[48:49], -v[36:37]
	v_add_f64 v[48:49], v[104:105], v[106:107]
	v_add_f64 v[54:55], v[44:45], v[40:41]
	v_add_f64 v[40:41], v[40:41], -v[44:45]
	v_add_f64 v[44:45], v[46:47], v[34:35]
	v_add_f64 v[78:79], v[50:51], v[38:39]
	v_add_f64 v[42:43], v[100:101], -v[110:111]
	v_add_f64 v[32:33], v[52:53], -v[32:33]
	;; [unrolled: 1-line block ×7, first 2 shown]
	v_add_f64 v[44:45], v[48:49], v[44:45]
	v_add_f64 v[48:49], v[54:55], v[78:79]
	v_add_f64 v[82:83], v[50:51], -v[38:39]
	v_add_f64 v[38:39], v[38:39], -v[54:55]
	;; [unrolled: 1-line block ×3, first 2 shown]
	v_add_f64 v[84:85], v[76:77], v[52:53]
	v_add_f64 v[86:87], v[40:41], v[36:37]
	v_add_f64 v[88:89], v[76:77], -v[52:53]
	v_add_f64 v[90:91], v[40:41], -v[36:37]
	v_add_f64 v[52:53], v[52:53], -v[42:43]
	v_add_f64 v[36:37], v[36:37], -v[32:33]
	v_add_f64 v[28:29], v[28:29], v[44:45]
	v_add_f64 v[30:31], v[30:31], v[48:49]
	v_add_f64 v[76:77], v[42:43], -v[76:77]
	v_add_f64 v[40:41], v[32:33], -v[40:41]
	v_add_f64 v[42:43], v[84:85], v[42:43]
	v_add_f64 v[32:33], v[86:87], v[32:33]
	v_mul_f64 v[34:35], v[34:35], s[10:11]
	v_mul_f64 v[38:39], v[38:39], s[10:11]
	;; [unrolled: 1-line block ×8, first 2 shown]
	v_mov_b64_e32 v[92:93], v[28:29]
	v_mov_b64_e32 v[94:95], v[30:31]
	v_fmac_f64_e32 v[92:93], s[14:15], v[44:45]
	v_fmac_f64_e32 v[94:95], s[14:15], v[48:49]
	v_fma_f64 v[44:45], v[80:81], s[8:9], -v[54:55]
	v_fma_f64 v[48:49], v[82:83], s[8:9], -v[78:79]
	;; [unrolled: 1-line block ×3, first 2 shown]
	v_fmac_f64_e32 v[34:35], s[12:13], v[46:47]
	v_fma_f64 v[46:47], v[82:83], s[18:19], -v[38:39]
	v_fmac_f64_e32 v[38:39], s[12:13], v[50:51]
	v_fma_f64 v[50:51], v[52:53], s[6:7], -v[84:85]
	;; [unrolled: 2-line block ×4, first 2 shown]
	v_fma_f64 v[78:79], v[40:41], s[22:23], -v[90:91]
	v_add_f64 v[80:81], v[34:35], v[92:93]
	v_add_f64 v[82:83], v[38:39], v[94:95]
	;; [unrolled: 1-line block ×6, first 2 shown]
	v_fmac_f64_e32 v[84:85], s[20:21], v[42:43]
	v_fmac_f64_e32 v[86:87], s[20:21], v[32:33]
	v_fmac_f64_e32 v[50:51], s[20:21], v[42:43]
	v_fmac_f64_e32 v[52:53], s[20:21], v[32:33]
	v_fmac_f64_e32 v[76:77], s[20:21], v[42:43]
	v_fmac_f64_e32 v[78:79], s[20:21], v[32:33]
	v_add_f64 v[32:33], v[86:87], v[80:81]
	v_add_f64 v[34:35], v[82:83], -v[84:85]
	v_add_f64 v[36:37], v[78:79], v[54:55]
	v_add_f64 v[38:39], v[88:89], -v[76:77]
	v_add_f64 v[40:41], v[44:45], -v[52:53]
	v_add_f64 v[42:43], v[50:51], v[48:49]
	v_add_f64 v[44:45], v[52:53], v[44:45]
	v_add_f64 v[46:47], v[48:49], -v[50:51]
	v_add_f64 v[48:49], v[54:55], -v[78:79]
	v_add_f64 v[50:51], v[76:77], v[88:89]
	v_add_f64 v[52:53], v[80:81], -v[86:87]
	v_add_f64 v[54:55], v[84:85], v[82:83]
	ds_write_b128 v70, v[28:31]
	ds_write_b128 v70, v[32:35] offset:3872
	ds_write_b128 v70, v[36:39] offset:7744
	;; [unrolled: 1-line block ×6, first 2 shown]
	s_and_saveexec_b64 s[26:27], s[2:3]
	s_cbranch_execz .LBB0_21
; %bb.20:
	v_add_u32_e32 v28, 0xffffffa8, v56
	v_cndmask_b32_e64 v28, v28, v62, s[2:3]
	v_mul_i32_i24_e32 v28, 6, v28
	v_mov_b32_e32 v29, 0
	v_lshl_add_u64 v[52:53], v[28:29], 4, s[4:5]
	global_load_dwordx4 v[28:31], v[52:53], off offset:3744
	global_load_dwordx4 v[32:35], v[52:53], off offset:3728
	;; [unrolled: 1-line block ×6, first 2 shown]
	s_waitcnt vmcnt(5)
	v_mul_f64 v[52:53], v[2:3], v[30:31]
	s_waitcnt vmcnt(4)
	v_mul_f64 v[54:55], v[10:11], v[34:35]
	;; [unrolled: 2-line block ×6, first 2 shown]
	v_mul_f64 v[34:35], v[8:9], v[34:35]
	v_mul_f64 v[38:39], v[12:13], v[38:39]
	;; [unrolled: 1-line block ×6, first 2 shown]
	v_fmac_f64_e32 v[52:53], v[0:1], v[28:29]
	v_fmac_f64_e32 v[54:55], v[8:9], v[32:33]
	;; [unrolled: 1-line block ×3, first 2 shown]
	v_fma_f64 v[0:1], v[10:11], v[32:33], -v[34:35]
	v_fma_f64 v[8:9], v[14:15], v[36:37], -v[38:39]
	;; [unrolled: 1-line block ×5, first 2 shown]
	v_fmac_f64_e32 v[78:79], v[20:21], v[40:41]
	v_fmac_f64_e32 v[80:81], v[16:17], v[44:45]
	;; [unrolled: 1-line block ×3, first 2 shown]
	v_fma_f64 v[2:3], v[2:3], v[28:29], -v[30:31]
	v_add_f64 v[24:25], v[8:9], v[10:11]
	v_add_f64 v[26:27], v[12:13], v[14:15]
	v_add_f64 v[16:17], v[52:53], -v[54:55]
	v_add_f64 v[18:19], v[76:77], -v[78:79]
	;; [unrolled: 1-line block ×3, first 2 shown]
	v_add_f64 v[22:23], v[0:1], v[2:3]
	v_add_f64 v[28:29], v[54:55], v[52:53]
	v_add_f64 v[30:31], v[76:77], v[78:79]
	v_add_f64 v[32:33], v[80:81], v[82:83]
	v_add_f64 v[0:1], v[2:3], -v[0:1]
	v_add_f64 v[8:9], v[8:9], -v[10:11]
	v_add_f64 v[36:37], v[24:25], v[26:27]
	v_add_f64 v[12:13], v[12:13], -v[14:15]
	v_add_f64 v[2:3], v[16:17], v[18:19]
	v_add_f64 v[10:11], v[16:17], -v[18:19]
	v_add_f64 v[14:15], v[20:21], -v[16:17]
	;; [unrolled: 1-line block ×5, first 2 shown]
	v_add_f64 v[42:43], v[30:31], v[32:33]
	v_add_f64 v[44:45], v[0:1], v[8:9]
	v_add_f64 v[18:19], v[18:19], -v[20:21]
	v_add_f64 v[22:23], v[22:23], v[36:37]
	v_add_f64 v[38:39], v[28:29], -v[30:31]
	v_add_f64 v[46:47], v[0:1], -v[8:9]
	;; [unrolled: 1-line block ×4, first 2 shown]
	v_add_f64 v[20:21], v[2:3], v[20:21]
	v_mul_f64 v[30:31], v[10:11], s[16:17]
	v_mul_f64 v[36:37], v[40:41], s[10:11]
	v_add_f64 v[28:29], v[28:29], v[42:43]
	v_add_f64 v[40:41], v[44:45], v[12:13]
	v_mul_f64 v[44:45], v[18:19], s[6:7]
	v_add_f64 v[2:3], v[6:7], v[22:23]
	v_add_f64 v[48:49], v[12:13], -v[0:1]
	v_mul_f64 v[10:11], v[34:35], s[10:11]
	v_mul_f64 v[42:43], v[46:47], s[16:17]
	v_fma_f64 v[46:47], s[24:25], v[14:15], v[30:31]
	v_add_f64 v[0:1], v[4:5], v[28:29]
	v_fma_f64 v[44:45], v[14:15], s[22:23], -v[44:45]
	v_mov_b64_e32 v[14:15], v[2:3]
	v_mul_f64 v[32:33], v[16:17], s[12:13]
	v_fma_f64 v[16:17], s[12:13], v[16:17], v[10:11]
	v_mov_b64_e32 v[50:51], v[0:1]
	v_fmac_f64_e32 v[14:15], s[14:15], v[22:23]
	v_add_f64 v[12:13], v[8:9], -v[12:13]
	v_mul_f64 v[34:35], v[38:39], s[12:13]
	v_fmac_f64_e32 v[50:51], s[14:15], v[28:29]
	v_add_f64 v[28:29], v[16:17], v[14:15]
	v_fma_f64 v[16:17], v[26:27], s[18:19], -v[36:37]
	v_mul_f64 v[8:9], v[12:13], s[6:7]
	v_fma_f64 v[18:19], v[18:19], s[6:7], -v[30:31]
	v_fma_f64 v[6:7], s[12:13], v[38:39], v[36:37]
	v_fma_f64 v[38:39], s[24:25], v[48:49], v[42:43]
	v_fma_f64 v[4:5], v[24:25], s[18:19], -v[10:11]
	v_fmac_f64_e32 v[46:47], s[20:21], v[20:21]
	v_fmac_f64_e32 v[44:45], s[20:21], v[20:21]
	v_add_f64 v[36:37], v[16:17], v[50:51]
	v_fma_f64 v[48:49], v[48:49], s[22:23], -v[8:9]
	v_fma_f64 v[16:17], v[24:25], s[8:9], -v[32:33]
	v_fmac_f64_e32 v[18:19], s[20:21], v[20:21]
	v_fma_f64 v[20:21], v[12:13], s[6:7], -v[42:43]
	v_fma_f64 v[12:13], v[26:27], s[8:9], -v[34:35]
	v_fmac_f64_e32 v[38:39], s[20:21], v[40:41]
	v_add_f64 v[52:53], v[6:7], v[50:51]
	v_add_f64 v[22:23], v[4:5], v[14:15]
	v_fmac_f64_e32 v[48:49], s[20:21], v[40:41]
	v_add_f64 v[16:17], v[16:17], v[14:15]
	v_fmac_f64_e32 v[20:21], s[20:21], v[40:41]
	v_add_f64 v[24:25], v[12:13], v[50:51]
	v_add_f64 v[6:7], v[46:47], v[28:29]
	v_add_f64 v[4:5], v[52:53], -v[38:39]
	v_add_f64 v[10:11], v[44:45], v[22:23]
	v_add_f64 v[8:9], v[36:37], -v[48:49]
	v_add_f64 v[14:15], v[16:17], -v[18:19]
	v_add_f64 v[12:13], v[20:21], v[24:25]
	v_add_f64 v[18:19], v[18:19], v[16:17]
	v_add_f64 v[16:17], v[24:25], -v[20:21]
	v_add_f64 v[22:23], v[22:23], -v[44:45]
	v_add_f64 v[20:21], v[48:49], v[36:37]
	v_add_f64 v[26:27], v[28:29], -v[46:47]
	v_add_f64 v[24:25], v[38:39], v[52:53]
	ds_write_b128 v70, v[0:3] offset:2464
	ds_write_b128 v70, v[24:27] offset:6336
	;; [unrolled: 1-line block ×7, first 2 shown]
.LBB0_21:
	s_or_b64 exec, exec, s[26:27]
	s_waitcnt lgkmcnt(0)
	s_barrier
	ds_read_b128 v[4:7], v70
	s_add_u32 s4, s4, 0x6930
	v_lshlrev_b32_e32 v0, 4, v56
	s_addc_u32 s5, s5, 0
	v_sub_u32_e32 v10, 0, v0
	v_cmp_ne_u32_e64 s[2:3], 0, v56
                                        ; implicit-def: $vgpr2_vgpr3
                                        ; implicit-def: $vgpr8_vgpr9
	s_and_saveexec_b64 s[6:7], s[2:3]
	s_xor_b64 s[2:3], exec, s[6:7]
	s_cbranch_execz .LBB0_23
; %bb.22:
	v_mov_b32_e32 v57, 0
	v_lshl_add_u64 v[0:1], v[56:57], 4, s[4:5]
	global_load_dwordx4 v[12:15], v[0:1], off
	ds_read_b128 v[0:3], v10 offset:27104
	s_waitcnt lgkmcnt(0)
	v_add_f64 v[16:17], v[4:5], v[0:1]
	v_add_f64 v[0:1], v[4:5], -v[0:1]
	v_add_f64 v[8:9], v[6:7], v[2:3]
	v_add_f64 v[2:3], v[6:7], -v[2:3]
	v_mul_f64 v[6:7], v[0:1], 0.5
	v_mul_f64 v[0:1], v[2:3], 0.5
	;; [unrolled: 1-line block ×3, first 2 shown]
	s_waitcnt vmcnt(0)
	v_mul_f64 v[2:3], v[6:7], v[14:15]
	v_fma_f64 v[18:19], 0.5, v[16:17], v[2:3]
	v_fma_f64 v[8:9], v[4:5], v[14:15], v[0:1]
	v_fma_f64 v[14:15], v[4:5], v[14:15], -v[0:1]
	v_fma_f64 v[0:1], v[16:17], 0.5, -v[2:3]
	v_fmac_f64_e32 v[18:19], v[4:5], v[12:13]
	v_fma_f64 v[8:9], -v[12:13], v[6:7], v[8:9]
	v_fma_f64 v[0:1], -v[4:5], v[12:13], v[0:1]
	ds_write_b64 v70, v[18:19]
	v_fma_f64 v[2:3], -v[12:13], v[6:7], v[14:15]
                                        ; implicit-def: $vgpr4_vgpr5
.LBB0_23:
	s_andn2_saveexec_b64 s[2:3], s[2:3]
	s_cbranch_execz .LBB0_25
; %bb.24:
	v_mov_b32_e32 v11, 0
	ds_read_b64 v[2:3], v11 offset:13560
	v_mov_b64_e32 v[8:9], 0
	s_waitcnt lgkmcnt(1)
	v_add_f64 v[12:13], v[4:5], v[6:7]
	v_add_f64 v[0:1], v[4:5], -v[6:7]
	ds_write_b64 v70, v[12:13]
	s_waitcnt lgkmcnt(1)
	v_xor_b32_e32 v3, 0x80000000, v3
	ds_write_b64 v11, v[2:3] offset:13560
	v_mov_b64_e32 v[2:3], v[8:9]
.LBB0_25:
	s_or_b64 exec, exec, s[2:3]
	v_mov_b32_e32 v63, 0
	s_waitcnt lgkmcnt(0)
	v_lshl_add_u64 v[4:5], v[62:63], 4, s[4:5]
	global_load_dwordx4 v[4:7], v[4:5], off
	v_mov_b32_e32 v67, v63
	v_lshl_add_u64 v[12:13], v[66:67], 4, s[4:5]
	global_load_dwordx4 v[12:15], v[12:13], off
	v_mov_b32_e32 v69, v63
	;; [unrolled: 3-line block ×3, first 2 shown]
	ds_write_b64 v70, v[8:9] offset:8
	ds_write_b128 v10, v[0:3] offset:27104
	v_lshl_add_u64 v[8:9], v[64:65], 4, s[4:5]
	ds_read_b128 v[0:3], v74
	ds_read_b128 v[20:23], v10 offset:24640
	global_load_dwordx4 v[24:27], v[8:9], off
	s_waitcnt lgkmcnt(0)
	v_add_f64 v[8:9], v[0:1], v[20:21]
	v_add_f64 v[0:1], v[0:1], -v[20:21]
	v_add_f64 v[28:29], v[2:3], v[22:23]
	v_add_f64 v[2:3], v[2:3], -v[22:23]
	v_mul_f64 v[22:23], v[0:1], 0.5
	v_mul_f64 v[20:21], v[28:29], 0.5
	v_mul_f64 v[0:1], v[2:3], 0.5
	s_waitcnt vmcnt(3)
	v_mul_f64 v[28:29], v[22:23], v[6:7]
	v_fma_f64 v[2:3], v[20:21], v[6:7], v[0:1]
	v_fma_f64 v[6:7], v[20:21], v[6:7], -v[0:1]
	v_fma_f64 v[0:1], 0.5, v[8:9], v[28:29]
	v_fma_f64 v[2:3], -v[4:5], v[22:23], v[2:3]
	v_fma_f64 v[8:9], v[8:9], 0.5, -v[28:29]
	v_fmac_f64_e32 v[0:1], v[20:21], v[4:5]
	v_fma_f64 v[6:7], -v[4:5], v[22:23], v[6:7]
	v_fma_f64 v[4:5], -v[20:21], v[4:5], v[8:9]
	ds_write_b128 v74, v[0:3]
	ds_write_b128 v10, v[4:7] offset:24640
	ds_read_b128 v[0:3], v73
	ds_read_b128 v[4:7], v10 offset:22176
	s_waitcnt lgkmcnt(0)
	v_add_f64 v[8:9], v[0:1], v[4:5]
	v_add_f64 v[0:1], v[0:1], -v[4:5]
	v_add_f64 v[20:21], v[2:3], v[6:7]
	v_add_f64 v[2:3], v[2:3], -v[6:7]
	v_mul_f64 v[6:7], v[0:1], 0.5
	v_mul_f64 v[4:5], v[20:21], 0.5
	v_mul_f64 v[0:1], v[2:3], 0.5
	s_waitcnt vmcnt(2)
	v_mul_f64 v[20:21], v[6:7], v[14:15]
	v_fma_f64 v[2:3], v[4:5], v[14:15], v[0:1]
	v_fma_f64 v[14:15], v[4:5], v[14:15], -v[0:1]
	v_fma_f64 v[0:1], 0.5, v[8:9], v[20:21]
	v_fma_f64 v[2:3], -v[12:13], v[6:7], v[2:3]
	v_fma_f64 v[8:9], v[8:9], 0.5, -v[20:21]
	v_fmac_f64_e32 v[0:1], v[4:5], v[12:13]
	v_fma_f64 v[6:7], -v[12:13], v[6:7], v[14:15]
	v_fma_f64 v[4:5], -v[4:5], v[12:13], v[8:9]
	ds_write_b128 v73, v[0:3]
	ds_write_b128 v10, v[4:7] offset:22176
	ds_read_b128 v[0:3], v72
	ds_read_b128 v[4:7], v10 offset:19712
	;; [unrolled: 22-line block ×3, first 2 shown]
	s_waitcnt lgkmcnt(0)
	v_add_f64 v[8:9], v[0:1], v[4:5]
	v_add_f64 v[0:1], v[0:1], -v[4:5]
	v_add_f64 v[12:13], v[2:3], v[6:7]
	v_add_f64 v[2:3], v[2:3], -v[6:7]
	v_mul_f64 v[6:7], v[0:1], 0.5
	v_mul_f64 v[4:5], v[12:13], 0.5
	v_mul_f64 v[0:1], v[2:3], 0.5
	s_waitcnt vmcnt(0)
	v_mul_f64 v[12:13], v[6:7], v[26:27]
	v_fma_f64 v[2:3], v[4:5], v[26:27], v[0:1]
	v_fma_f64 v[14:15], v[4:5], v[26:27], -v[0:1]
	v_fma_f64 v[0:1], 0.5, v[8:9], v[12:13]
	v_fma_f64 v[2:3], -v[24:25], v[6:7], v[2:3]
	v_fma_f64 v[8:9], v[8:9], 0.5, -v[12:13]
	v_fmac_f64_e32 v[0:1], v[4:5], v[24:25]
	v_fma_f64 v[6:7], -v[24:25], v[6:7], v[14:15]
	v_fma_f64 v[4:5], -v[4:5], v[24:25], v[8:9]
	ds_write_b128 v61, v[0:3]
	ds_write_b128 v10, v[4:7] offset:17248
	s_and_saveexec_b64 s[2:3], vcc
	s_cbranch_execz .LBB0_27
; %bb.26:
	v_mov_b32_e32 v61, v63
	v_lshl_add_u64 v[0:1], v[60:61], 4, s[4:5]
	global_load_dwordx4 v[0:3], v[0:1], off
	ds_read_b128 v[4:7], v71
	ds_read_b128 v[12:15], v10 offset:14784
	s_waitcnt lgkmcnt(0)
	v_add_f64 v[8:9], v[4:5], v[12:13]
	v_add_f64 v[4:5], v[4:5], -v[12:13]
	v_add_f64 v[16:17], v[6:7], v[14:15]
	v_add_f64 v[6:7], v[6:7], -v[14:15]
	v_mul_f64 v[14:15], v[4:5], 0.5
	v_mul_f64 v[12:13], v[16:17], 0.5
	;; [unrolled: 1-line block ×3, first 2 shown]
	s_waitcnt vmcnt(0)
	v_mul_f64 v[6:7], v[14:15], v[2:3]
	v_fma_f64 v[16:17], v[12:13], v[2:3], v[4:5]
	v_fma_f64 v[18:19], v[12:13], v[2:3], -v[4:5]
	v_fma_f64 v[2:3], 0.5, v[8:9], v[6:7]
	v_fma_f64 v[4:5], -v[0:1], v[14:15], v[16:17]
	v_fma_f64 v[6:7], v[8:9], 0.5, -v[6:7]
	v_fmac_f64_e32 v[2:3], v[12:13], v[0:1]
	v_fma_f64 v[8:9], -v[0:1], v[14:15], v[18:19]
	v_fma_f64 v[6:7], -v[12:13], v[0:1], v[6:7]
	ds_write_b128 v71, v[2:5]
	ds_write_b128 v10, v[6:9] offset:14784
.LBB0_27:
	s_or_b64 exec, exec, s[2:3]
	s_waitcnt lgkmcnt(0)
	s_barrier
	s_and_saveexec_b64 s[2:3], s[0:1]
	s_cbranch_execz .LBB0_30
; %bb.28:
	ds_read_b128 v[0:3], v70
	ds_read_b128 v[4:7], v70 offset:2464
	v_mov_b32_e32 v57, 0
	v_lshl_add_u64 v[8:9], v[56:57], 4, v[58:59]
	v_add_co_u32_e32 v10, vcc, 0x1000, v8
	s_waitcnt lgkmcnt(1)
	global_store_dwordx4 v[8:9], v[0:3], off
	s_waitcnt lgkmcnt(0)
	global_store_dwordx4 v[8:9], v[4:7], off offset:2464
	ds_read_b128 v[0:3], v70 offset:4928
	ds_read_b128 v[4:7], v70 offset:7392
	v_addc_co_u32_e32 v11, vcc, 0, v9, vcc
	s_movk_i32 s0, 0x99
	s_waitcnt lgkmcnt(1)
	global_store_dwordx4 v[10:11], v[0:3], off offset:832
	s_waitcnt lgkmcnt(0)
	global_store_dwordx4 v[10:11], v[4:7], off offset:3296
	ds_read_b128 v[0:3], v70 offset:9856
	ds_read_b128 v[4:7], v70 offset:12320
	v_add_co_u32_e32 v10, vcc, 0x2000, v8
	s_nop 1
	v_addc_co_u32_e32 v11, vcc, 0, v9, vcc
	s_waitcnt lgkmcnt(1)
	global_store_dwordx4 v[10:11], v[0:3], off offset:1664
	v_add_co_u32_e32 v10, vcc, 0x3000, v8
	ds_read_b128 v[0:3], v70 offset:14784
	s_nop 0
	v_addc_co_u32_e32 v11, vcc, 0, v9, vcc
	s_waitcnt lgkmcnt(1)
	global_store_dwordx4 v[10:11], v[4:7], off offset:32
	ds_read_b128 v[4:7], v70 offset:17248
	s_waitcnt lgkmcnt(1)
	global_store_dwordx4 v[10:11], v[0:3], off offset:2496
	v_add_co_u32_e32 v10, vcc, 0x4000, v8
	ds_read_b128 v[0:3], v70 offset:19712
	s_nop 0
	v_addc_co_u32_e32 v11, vcc, 0, v9, vcc
	s_waitcnt lgkmcnt(1)
	global_store_dwordx4 v[10:11], v[4:7], off offset:864
	ds_read_b128 v[4:7], v70 offset:22176
	s_waitcnt lgkmcnt(1)
	global_store_dwordx4 v[10:11], v[0:3], off offset:3328
	s_nop 1
	v_add_co_u32_e32 v0, vcc, 0x5000, v8
	s_nop 1
	v_addc_co_u32_e32 v1, vcc, 0, v9, vcc
	s_waitcnt lgkmcnt(0)
	global_store_dwordx4 v[0:1], v[4:7], off offset:1696
	ds_read_b128 v[0:3], v70 offset:24640
	s_nop 0
	v_add_co_u32_e32 v4, vcc, 0x6000, v8
	s_nop 1
	v_addc_co_u32_e32 v5, vcc, 0, v9, vcc
	v_cmp_eq_u32_e32 vcc, s0, v56
	s_waitcnt lgkmcnt(0)
	global_store_dwordx4 v[4:5], v[0:3], off offset:64
	s_and_b64 exec, exec, vcc
	s_cbranch_execz .LBB0_30
; %bb.29:
	ds_read_b128 v[0:3], v57 offset:27104
	v_add_co_u32_e32 v4, vcc, 0x6000, v58
	s_nop 1
	v_addc_co_u32_e32 v5, vcc, 0, v59, vcc
	s_waitcnt lgkmcnt(0)
	global_store_dwordx4 v[4:5], v[0:3], off offset:2528
.LBB0_30:
	s_endpgm
	.section	.rodata,"a",@progbits
	.p2align	6, 0x0
	.amdhsa_kernel fft_rtc_back_len1694_factors_11_2_11_7_wgs_154_tpt_154_halfLds_dp_ip_CI_unitstride_sbrr_R2C_dirReg
		.amdhsa_group_segment_fixed_size 0
		.amdhsa_private_segment_fixed_size 0
		.amdhsa_kernarg_size 88
		.amdhsa_user_sgpr_count 2
		.amdhsa_user_sgpr_dispatch_ptr 0
		.amdhsa_user_sgpr_queue_ptr 0
		.amdhsa_user_sgpr_kernarg_segment_ptr 1
		.amdhsa_user_sgpr_dispatch_id 0
		.amdhsa_user_sgpr_kernarg_preload_length 0
		.amdhsa_user_sgpr_kernarg_preload_offset 0
		.amdhsa_user_sgpr_private_segment_size 0
		.amdhsa_uses_dynamic_stack 0
		.amdhsa_enable_private_segment 0
		.amdhsa_system_sgpr_workgroup_id_x 1
		.amdhsa_system_sgpr_workgroup_id_y 0
		.amdhsa_system_sgpr_workgroup_id_z 0
		.amdhsa_system_sgpr_workgroup_info 0
		.amdhsa_system_vgpr_workitem_id 0
		.amdhsa_next_free_vgpr 128
		.amdhsa_next_free_sgpr 36
		.amdhsa_accum_offset 128
		.amdhsa_reserve_vcc 1
		.amdhsa_float_round_mode_32 0
		.amdhsa_float_round_mode_16_64 0
		.amdhsa_float_denorm_mode_32 3
		.amdhsa_float_denorm_mode_16_64 3
		.amdhsa_dx10_clamp 1
		.amdhsa_ieee_mode 1
		.amdhsa_fp16_overflow 0
		.amdhsa_tg_split 0
		.amdhsa_exception_fp_ieee_invalid_op 0
		.amdhsa_exception_fp_denorm_src 0
		.amdhsa_exception_fp_ieee_div_zero 0
		.amdhsa_exception_fp_ieee_overflow 0
		.amdhsa_exception_fp_ieee_underflow 0
		.amdhsa_exception_fp_ieee_inexact 0
		.amdhsa_exception_int_div_zero 0
	.end_amdhsa_kernel
	.text
.Lfunc_end0:
	.size	fft_rtc_back_len1694_factors_11_2_11_7_wgs_154_tpt_154_halfLds_dp_ip_CI_unitstride_sbrr_R2C_dirReg, .Lfunc_end0-fft_rtc_back_len1694_factors_11_2_11_7_wgs_154_tpt_154_halfLds_dp_ip_CI_unitstride_sbrr_R2C_dirReg
                                        ; -- End function
	.section	.AMDGPU.csdata,"",@progbits
; Kernel info:
; codeLenInByte = 12244
; NumSgprs: 42
; NumVgprs: 128
; NumAgprs: 0
; TotalNumVgprs: 128
; ScratchSize: 0
; MemoryBound: 0
; FloatMode: 240
; IeeeMode: 1
; LDSByteSize: 0 bytes/workgroup (compile time only)
; SGPRBlocks: 5
; VGPRBlocks: 15
; NumSGPRsForWavesPerEU: 42
; NumVGPRsForWavesPerEU: 128
; AccumOffset: 128
; Occupancy: 4
; WaveLimiterHint : 1
; COMPUTE_PGM_RSRC2:SCRATCH_EN: 0
; COMPUTE_PGM_RSRC2:USER_SGPR: 2
; COMPUTE_PGM_RSRC2:TRAP_HANDLER: 0
; COMPUTE_PGM_RSRC2:TGID_X_EN: 1
; COMPUTE_PGM_RSRC2:TGID_Y_EN: 0
; COMPUTE_PGM_RSRC2:TGID_Z_EN: 0
; COMPUTE_PGM_RSRC2:TIDIG_COMP_CNT: 0
; COMPUTE_PGM_RSRC3_GFX90A:ACCUM_OFFSET: 31
; COMPUTE_PGM_RSRC3_GFX90A:TG_SPLIT: 0
	.text
	.p2alignl 6, 3212836864
	.fill 256, 4, 3212836864
	.type	__hip_cuid_529a447e95ae3259,@object ; @__hip_cuid_529a447e95ae3259
	.section	.bss,"aw",@nobits
	.globl	__hip_cuid_529a447e95ae3259
__hip_cuid_529a447e95ae3259:
	.byte	0                               ; 0x0
	.size	__hip_cuid_529a447e95ae3259, 1

	.ident	"AMD clang version 19.0.0git (https://github.com/RadeonOpenCompute/llvm-project roc-6.4.0 25133 c7fe45cf4b819c5991fe208aaa96edf142730f1d)"
	.section	".note.GNU-stack","",@progbits
	.addrsig
	.addrsig_sym __hip_cuid_529a447e95ae3259
	.amdgpu_metadata
---
amdhsa.kernels:
  - .agpr_count:     0
    .args:
      - .actual_access:  read_only
        .address_space:  global
        .offset:         0
        .size:           8
        .value_kind:     global_buffer
      - .offset:         8
        .size:           8
        .value_kind:     by_value
      - .actual_access:  read_only
        .address_space:  global
        .offset:         16
        .size:           8
        .value_kind:     global_buffer
      - .actual_access:  read_only
        .address_space:  global
        .offset:         24
        .size:           8
        .value_kind:     global_buffer
      - .offset:         32
        .size:           8
        .value_kind:     by_value
      - .actual_access:  read_only
        .address_space:  global
        .offset:         40
        .size:           8
        .value_kind:     global_buffer
      - .actual_access:  read_only
        .address_space:  global
        .offset:         48
        .size:           8
        .value_kind:     global_buffer
      - .offset:         56
        .size:           4
        .value_kind:     by_value
      - .actual_access:  read_only
        .address_space:  global
        .offset:         64
        .size:           8
        .value_kind:     global_buffer
      - .actual_access:  read_only
        .address_space:  global
        .offset:         72
        .size:           8
        .value_kind:     global_buffer
      - .address_space:  global
        .offset:         80
        .size:           8
        .value_kind:     global_buffer
    .group_segment_fixed_size: 0
    .kernarg_segment_align: 8
    .kernarg_segment_size: 88
    .language:       OpenCL C
    .language_version:
      - 2
      - 0
    .max_flat_workgroup_size: 154
    .name:           fft_rtc_back_len1694_factors_11_2_11_7_wgs_154_tpt_154_halfLds_dp_ip_CI_unitstride_sbrr_R2C_dirReg
    .private_segment_fixed_size: 0
    .sgpr_count:     42
    .sgpr_spill_count: 0
    .symbol:         fft_rtc_back_len1694_factors_11_2_11_7_wgs_154_tpt_154_halfLds_dp_ip_CI_unitstride_sbrr_R2C_dirReg.kd
    .uniform_work_group_size: 1
    .uses_dynamic_stack: false
    .vgpr_count:     128
    .vgpr_spill_count: 0
    .wavefront_size: 64
amdhsa.target:   amdgcn-amd-amdhsa--gfx950
amdhsa.version:
  - 1
  - 2
...

	.end_amdgpu_metadata
